;; amdgpu-corpus repo=ROCm/rocFFT kind=compiled arch=gfx1201 opt=O3
	.text
	.amdgcn_target "amdgcn-amd-amdhsa--gfx1201"
	.amdhsa_code_object_version 6
	.protected	bluestein_single_fwd_len1300_dim1_dp_op_CI_CI ; -- Begin function bluestein_single_fwd_len1300_dim1_dp_op_CI_CI
	.globl	bluestein_single_fwd_len1300_dim1_dp_op_CI_CI
	.p2align	8
	.type	bluestein_single_fwd_len1300_dim1_dp_op_CI_CI,@function
bluestein_single_fwd_len1300_dim1_dp_op_CI_CI: ; @bluestein_single_fwd_len1300_dim1_dp_op_CI_CI
; %bb.0:
	s_load_b128 s[16:19], s[0:1], 0x28
	v_mul_u32_u24_e32 v1, 0x1f9, v0
	s_mov_b32 s2, exec_lo
	v_mov_b32_e32 v6, 0
	s_delay_alu instid0(VALU_DEP_2) | instskip(NEXT) | instid1(VALU_DEP_1)
	v_lshrrev_b32_e32 v1, 16, v1
	v_add_nc_u32_e32 v5, ttmp9, v1
	s_wait_kmcnt 0x0
	s_delay_alu instid0(VALU_DEP_1)
	v_cmpx_gt_u64_e64 s[16:17], v[5:6]
	s_cbranch_execz .LBB0_10
; %bb.1:
	s_clause 0x1
	s_load_b128 s[4:7], s[0:1], 0x18
	s_load_b128 s[8:11], s[0:1], 0x0
	v_mul_lo_u16 v1, 0x82, v1
	s_mov_b32 s16, 0x4755a5e
	s_mov_b32 s17, 0x3fe2cf23
	;; [unrolled: 1-line block ×4, first 2 shown]
	v_sub_nc_u16 v0, v0, v1
	s_delay_alu instid0(VALU_DEP_1)
	v_dual_mov_b32 v6, v5 :: v_dual_and_b32 v21, 0xffff, v0
	scratch_store_b64 off, v[6:7], off offset:4 ; 8-byte Folded Spill
	v_lshlrev_b32_e32 v255, 4, v21
	s_wait_kmcnt 0x0
	s_load_b128 s[12:15], s[4:5], 0x0
	s_clause 0x7
	global_load_b128 v[22:25], v255, s[8:9]
	global_load_b128 v[26:29], v255, s[8:9] offset:2080
	global_load_b128 v[102:105], v255, s[8:9] offset:4160
	;; [unrolled: 1-line block ×7, first 2 shown]
	s_wait_kmcnt 0x0
	v_mad_co_u64_u32 v[1:2], null, s14, v5, 0
	v_mad_co_u64_u32 v[3:4], null, s12, v21, 0
	s_mul_u64 s[2:3], s[12:13], 0x820
	s_mov_b32 s14, s16
	s_delay_alu instid0(VALU_DEP_1) | instskip(SKIP_1) | instid1(VALU_DEP_1)
	v_mad_co_u64_u32 v[5:6], null, s15, v5, v[2:3]
	s_mov_b32 s15, 0xbfe2cf23
	v_mad_co_u64_u32 v[6:7], null, s13, v21, v[4:5]
	v_mov_b32_e32 v2, v5
	s_mov_b32 s12, 0x134454ff
	s_mov_b32 s13, 0x3fee6f0e
	s_delay_alu instid0(VALU_DEP_1) | instskip(NEXT) | instid1(VALU_DEP_3)
	v_lshlrev_b64_e32 v[1:2], 4, v[1:2]
	v_mov_b32_e32 v4, v6
	s_delay_alu instid0(VALU_DEP_2) | instskip(NEXT) | instid1(VALU_DEP_2)
	v_add_co_u32 v1, vcc_lo, s18, v1
	v_lshlrev_b64_e32 v[3:4], 4, v[3:4]
	s_delay_alu instid0(VALU_DEP_4) | instskip(SKIP_2) | instid1(VALU_DEP_2)
	v_add_co_ci_u32_e32 v2, vcc_lo, s19, v2, vcc_lo
	s_mov_b32 s18, 0x372fe950
	s_mov_b32 s19, 0x3fd3c6ef
	v_add_co_u32 v1, vcc_lo, v1, v3
	s_wait_alu 0xfffd
	v_add_co_ci_u32_e32 v2, vcc_lo, v2, v4, vcc_lo
	s_delay_alu instid0(VALU_DEP_2) | instskip(SKIP_1) | instid1(VALU_DEP_2)
	v_add_co_u32 v5, vcc_lo, v1, s2
	s_wait_alu 0xfffd
	v_add_co_ci_u32_e32 v6, vcc_lo, s3, v2, vcc_lo
	s_delay_alu instid0(VALU_DEP_2) | instskip(SKIP_1) | instid1(VALU_DEP_2)
	v_add_co_u32 v9, vcc_lo, v5, s2
	s_wait_alu 0xfffd
	v_add_co_ci_u32_e32 v10, vcc_lo, s3, v6, vcc_lo
	s_clause 0x1
	global_load_b128 v[1:4], v[1:2], off
	global_load_b128 v[5:8], v[5:6], off
	v_add_co_u32 v13, vcc_lo, v9, s2
	s_wait_alu 0xfffd
	v_add_co_ci_u32_e32 v14, vcc_lo, s3, v10, vcc_lo
	s_delay_alu instid0(VALU_DEP_2) | instskip(SKIP_1) | instid1(VALU_DEP_2)
	v_add_co_u32 v17, vcc_lo, v13, s2
	s_wait_alu 0xfffd
	v_add_co_ci_u32_e32 v18, vcc_lo, s3, v14, vcc_lo
	s_clause 0x1
	global_load_b128 v[9:12], v[9:10], off
	global_load_b128 v[13:16], v[13:14], off
	v_add_co_u32 v32, vcc_lo, v17, s2
	s_wait_alu 0xfffd
	v_add_co_ci_u32_e32 v33, vcc_lo, s3, v18, vcc_lo
	global_load_b128 v[40:43], v[17:18], off
	v_add_co_u32 v34, vcc_lo, v32, s2
	s_wait_alu 0xfffd
	v_add_co_ci_u32_e32 v35, vcc_lo, s3, v33, vcc_lo
	global_load_b128 v[44:47], v[32:33], off
	v_add_co_u32 v17, vcc_lo, v34, s2
	s_wait_alu 0xfffd
	v_add_co_ci_u32_e32 v18, vcc_lo, s3, v35, vcc_lo
	global_load_b128 v[48:51], v[34:35], off
	v_add_co_u32 v32, vcc_lo, v17, s2
	s_wait_alu 0xfffd
	v_add_co_ci_u32_e32 v33, vcc_lo, s3, v18, vcc_lo
	s_delay_alu instid0(VALU_DEP_2) | instskip(SKIP_1) | instid1(VALU_DEP_2)
	v_add_co_u32 v60, vcc_lo, v32, s2
	s_wait_alu 0xfffd
	v_add_co_ci_u32_e32 v61, vcc_lo, s3, v33, vcc_lo
	global_load_b128 v[52:55], v[17:18], off
	global_load_b128 v[56:59], v[32:33], off
	s_clause 0x1
	global_load_b128 v[30:33], v255, s[8:9] offset:16640
	global_load_b128 v[34:37], v255, s[8:9] offset:18720
	global_load_b128 v[60:63], v[60:61], off
	s_load_b128 s[4:7], s[6:7], 0x0
	s_mov_b32 s3, 0xbfee6f0e
	s_mov_b32 s2, s12
	v_cmp_gt_u16_e32 vcc_lo, 0x64, v0
	s_wait_loadcnt 0x13
	scratch_store_b128 off, v[22:25], off offset:12 ; 16-byte Folded Spill
	s_wait_loadcnt 0x12
	scratch_store_b128 off, v[26:29], off offset:28 ; 16-byte Folded Spill
	;; [unrolled: 2-line block ×8, first 2 shown]
	s_wait_loadcnt 0xb
	v_mul_f64_e32 v[17:18], v[3:4], v[24:25]
	v_mul_f64_e32 v[64:65], v[1:2], v[24:25]
	s_wait_loadcnt 0xa
	v_mul_f64_e32 v[66:67], v[7:8], v[28:29]
	v_mul_f64_e32 v[68:69], v[5:6], v[28:29]
	;; [unrolled: 3-line block ×10, first 2 shown]
	v_fma_f64 v[1:2], v[1:2], v[22:23], v[17:18]
	v_fma_f64 v[3:4], v[3:4], v[22:23], -v[64:65]
	v_fma_f64 v[5:6], v[5:6], v[26:27], v[66:67]
	v_fma_f64 v[7:8], v[7:8], v[26:27], -v[68:69]
	s_clause 0x1
	scratch_store_b128 off, v[30:33], off offset:140
	scratch_store_b128 off, v[34:37], off offset:156
	v_fma_f64 v[9:10], v[9:10], v[102:103], v[70:71]
	v_fma_f64 v[11:12], v[11:12], v[102:103], -v[72:73]
	v_fma_f64 v[13:14], v[13:14], v[106:107], v[74:75]
	v_fma_f64 v[15:16], v[15:16], v[106:107], -v[76:77]
	;; [unrolled: 2-line block ×8, first 2 shown]
	ds_store_b128 v255, v[1:4]
	ds_store_b128 v255, v[5:8] offset:2080
	ds_store_b128 v255, v[9:12] offset:4160
	;; [unrolled: 1-line block ×9, first 2 shown]
	global_wb scope:SCOPE_SE
	s_wait_storecnt_dscnt 0x0
	s_wait_kmcnt 0x0
	s_barrier_signal -1
	s_barrier_wait -1
	global_inv scope:SCOPE_SE
	ds_load_b128 v[1:4], v255 offset:6240
	ds_load_b128 v[5:8], v255 offset:10400
	;; [unrolled: 1-line block ×5, first 2 shown]
	s_wait_dscnt 0x3
	v_add_f64_e64 v[86:87], v[1:2], -v[5:6]
	s_wait_dscnt 0x2
	v_add_f64_e32 v[17:18], v[5:6], v[9:10]
	s_wait_dscnt 0x1
	v_add_f64_e32 v[44:45], v[3:4], v[15:16]
	v_add_f64_e32 v[46:47], v[1:2], v[13:14]
	v_add_f64_e32 v[56:57], v[7:8], v[11:12]
	v_add_f64_e64 v[64:65], v[3:4], -v[15:16]
	v_add_f64_e64 v[68:69], v[5:6], -v[9:10]
	;; [unrolled: 1-line block ×11, first 2 shown]
	s_wait_dscnt 0x0
	v_add_f64_e32 v[1:2], v[40:41], v[1:2]
	v_add_f64_e32 v[3:4], v[42:43], v[3:4]
	v_fma_f64 v[17:18], v[17:18], -0.5, v[40:41]
	v_fma_f64 v[70:71], v[44:45], -0.5, v[42:43]
	;; [unrolled: 1-line block ×4, first 2 shown]
	ds_load_b128 v[44:47], v255 offset:4160
	ds_load_b128 v[48:51], v255 offset:8320
	;; [unrolled: 1-line block ×4, first 2 shown]
	ds_load_b128 v[60:63], v255
	global_wb scope:SCOPE_SE
	s_wait_dscnt 0x0
	s_barrier_signal -1
	s_barrier_wait -1
	global_inv scope:SCOPE_SE
	v_add_f64_e32 v[1:2], v[1:2], v[5:6]
	v_add_f64_e32 v[3:4], v[3:4], v[7:8]
	;; [unrolled: 1-line block ×8, first 2 shown]
	v_add_f64_e64 v[112:113], v[46:47], -v[58:59]
	v_add_f64_e64 v[114:115], v[50:51], -v[54:55]
	;; [unrolled: 1-line block ×4, first 2 shown]
	v_fma_f64 v[100:101], v[64:65], s[12:13], v[17:18]
	v_fma_f64 v[102:103], v[68:69], s[12:13], v[70:71]
	;; [unrolled: 1-line block ×3, first 2 shown]
	s_wait_alu 0xfffe
	v_fma_f64 v[72:73], v[66:67], s[2:3], v[72:73]
	v_fma_f64 v[70:71], v[68:69], s[2:3], v[70:71]
	;; [unrolled: 1-line block ×5, first 2 shown]
	v_add_f64_e32 v[1:2], v[1:2], v[9:10]
	v_add_f64_e32 v[3:4], v[3:4], v[11:12]
	v_fma_f64 v[40:41], v[78:79], -0.5, v[60:61]
	v_fma_f64 v[60:61], v[80:81], -0.5, v[60:61]
	;; [unrolled: 1-line block ×4, first 2 shown]
	v_add_f64_e32 v[80:81], v[86:87], v[88:89]
	v_add_f64_e32 v[84:85], v[94:95], v[96:97]
	v_add_f64_e32 v[82:83], v[90:91], v[92:93]
	v_add_f64_e64 v[96:97], v[46:47], -v[50:51]
	v_add_f64_e64 v[46:47], v[50:51], -v[46:47]
	v_add_f64_e32 v[50:51], v[116:117], v[50:51]
	v_add_f64_e64 v[92:93], v[56:57], -v[52:53]
	v_add_f64_e64 v[94:95], v[52:53], -v[56:57]
	v_fma_f64 v[86:87], v[66:67], s[16:17], v[100:101]
	v_fma_f64 v[88:89], v[74:75], s[14:15], v[102:103]
	;; [unrolled: 1-line block ×6, first 2 shown]
	v_add_f64_e32 v[66:67], v[98:99], v[106:107]
	v_fma_f64 v[72:73], v[68:69], s[16:17], v[108:109]
	v_add_f64_e64 v[74:75], v[44:45], -v[48:49]
	v_add_f64_e64 v[44:45], v[48:49], -v[44:45]
	v_add_f64_e32 v[48:49], v[110:111], v[48:49]
	v_add_f64_e64 v[98:99], v[58:59], -v[54:55]
	v_add_f64_e64 v[100:101], v[54:55], -v[58:59]
	v_fma_f64 v[68:69], v[68:69], s[14:15], v[76:77]
	v_add_f64_e32 v[13:14], v[1:2], v[13:14]
	v_add_f64_e32 v[15:16], v[3:4], v[15:16]
	v_and_b32_e32 v1, 0xff, v0
	s_delay_alu instid0(VALU_DEP_1)
	v_mul_lo_u16 v1, 0xcd, v1
	v_fma_f64 v[5:6], v[112:113], s[12:13], v[40:41]
	v_fma_f64 v[7:8], v[112:113], s[2:3], v[40:41]
	;; [unrolled: 1-line block ×8, first 2 shown]
	v_lshrrev_b16 v20, 11, v1
	v_add_f64_e32 v[50:51], v[50:51], v[54:55]
	s_delay_alu instid0(VALU_DEP_2)
	v_mul_lo_u16 v1, v20, 10
	v_fma_f64 v[76:77], v[80:81], s[18:19], v[86:87]
	v_fma_f64 v[86:87], v[84:85], s[18:19], v[88:89]
	v_fma_f64 v[88:89], v[82:83], s[18:19], v[90:91]
	v_fma_f64 v[64:65], v[82:83], s[18:19], v[64:65]
	v_fma_f64 v[70:71], v[84:85], s[18:19], v[70:71]
	v_fma_f64 v[17:18], v[80:81], s[18:19], v[17:18]
	v_sub_nc_u16 v1, v0, v1
	v_fma_f64 v[72:73], v[66:67], s[18:19], v[72:73]
	v_add_f64_e32 v[74:75], v[74:75], v[92:93]
	v_add_f64_e32 v[44:45], v[44:45], v[94:95]
	v_add_f64_e32 v[48:49], v[48:49], v[52:53]
	v_add_f64_e32 v[80:81], v[96:97], v[98:99]
	v_add_f64_e32 v[46:47], v[46:47], v[100:101]
	v_and_b32_e32 v1, 0xff, v1
	v_fma_f64 v[5:6], v[114:115], s[16:17], v[5:6]
	v_fma_f64 v[7:8], v[114:115], s[14:15], v[7:8]
	;; [unrolled: 1-line block ×9, first 2 shown]
	v_add_f64_e32 v[50:51], v[50:51], v[58:59]
	v_mul_f64_e32 v[62:63], s[20:21], v[76:77]
	v_mul_f64_e32 v[66:67], s[12:13], v[86:87]
	;; [unrolled: 1-line block ×8, first 2 shown]
	v_add_f64_e32 v[48:49], v[48:49], v[56:57]
	v_fma_f64 v[56:57], v[74:75], s[18:19], v[5:6]
	v_fma_f64 v[58:59], v[74:75], s[18:19], v[7:8]
	v_fma_f64 v[74:75], v[44:45], s[18:19], v[9:10]
	v_fma_f64 v[92:93], v[44:45], s[18:19], v[11:12]
	v_fma_f64 v[94:95], v[80:81], s[18:19], v[40:41]
	v_fma_f64 v[96:97], v[46:47], s[18:19], v[52:53]
	v_fma_f64 v[98:99], v[46:47], s[18:19], v[54:55]
	v_fma_f64 v[80:81], v[80:81], s[18:19], v[42:43]
	v_add_f64_e32 v[4:5], v[50:51], v[15:16]
	v_add_f64_e64 v[8:9], v[50:51], -v[15:16]
	v_fma_f64 v[52:53], v[60:61], s[16:17], v[62:63]
	v_fma_f64 v[54:55], v[64:65], s[18:19], v[66:67]
	;; [unrolled: 1-line block ×3, first 2 shown]
	v_fma_f64 v[62:63], v[70:71], s[12:13], -v[68:69]
	v_fma_f64 v[68:69], v[86:87], s[18:19], v[82:83]
	v_fma_f64 v[70:71], v[88:89], s[2:3], -v[84:85]
	v_fma_f64 v[64:65], v[72:73], s[16:17], -v[78:79]
	;; [unrolled: 1-line block ×3, first 2 shown]
	v_add_f64_e32 v[2:3], v[48:49], v[13:14]
	v_add_f64_e64 v[6:7], v[48:49], -v[13:14]
	v_add_f64_e32 v[10:11], v[56:57], v[52:53]
	v_add_f64_e32 v[14:15], v[74:75], v[54:55]
	;; [unrolled: 1-line block ×8, first 2 shown]
	v_add_f64_e64 v[48:49], v[56:57], -v[52:53]
	v_add_f64_e64 v[50:51], v[94:95], -v[66:67]
	;; [unrolled: 1-line block ×8, first 2 shown]
	v_mul_lo_u16 v18, v0, 10
	s_delay_alu instid0(VALU_DEP_1) | instskip(NEXT) | instid1(VALU_DEP_1)
	v_and_b32_e32 v18, 0xffff, v18
	v_lshlrev_b32_e32 v140, 4, v18
	v_mad_co_u64_u32 v[18:19], null, 0x90, v1, s[10:11]
	ds_store_b128 v140, v[2:5]
	ds_store_b128 v140, v[10:13] offset:16
	ds_store_b128 v140, v[14:17] offset:32
	;; [unrolled: 1-line block ×9, first 2 shown]
	global_wb scope:SCOPE_SE
	s_wait_dscnt 0x0
	s_barrier_signal -1
	s_barrier_wait -1
	global_inv scope:SCOPE_SE
	s_clause 0x8
	global_load_b128 v[60:63], v[18:19], off offset:32
	global_load_b128 v[72:75], v[18:19], off offset:64
	;; [unrolled: 1-line block ×4, first 2 shown]
	global_load_b128 v[40:43], v[18:19], off
	global_load_b128 v[56:59], v[18:19], off offset:16
	global_load_b128 v[52:55], v[18:19], off offset:48
	;; [unrolled: 1-line block ×4, first 2 shown]
	ds_load_b128 v[2:5], v255 offset:6240
	ds_load_b128 v[6:9], v255 offset:10400
	;; [unrolled: 1-line block ×6, first 2 shown]
	s_wait_loadcnt_dscnt 0x805
	v_mul_f64_e32 v[18:19], v[4:5], v[62:63]
	v_mul_f64_e32 v[84:85], v[2:3], v[62:63]
	s_wait_loadcnt_dscnt 0x704
	v_mul_f64_e32 v[86:87], v[8:9], v[74:75]
	v_mul_f64_e32 v[88:89], v[6:7], v[74:75]
	s_wait_loadcnt_dscnt 0x603
	v_mul_f64_e32 v[90:91], v[10:11], v[70:71]
	s_wait_loadcnt_dscnt 0x502
	v_mul_f64_e32 v[92:93], v[14:15], v[78:79]
	v_mul_f64_e32 v[94:95], v[16:17], v[78:79]
	;; [unrolled: 1-line block ×3, first 2 shown]
	s_wait_loadcnt_dscnt 0x401
	v_mul_f64_e32 v[98:99], v[66:67], v[42:43]
	v_mul_f64_e32 v[100:101], v[64:65], v[42:43]
	v_fma_f64 v[18:19], v[2:3], v[60:61], -v[18:19]
	v_fma_f64 v[84:85], v[4:5], v[60:61], v[84:85]
	v_fma_f64 v[86:87], v[6:7], v[72:73], -v[86:87]
	v_fma_f64 v[88:89], v[8:9], v[72:73], v[88:89]
	v_fma_f64 v[90:91], v[12:13], v[68:69], v[90:91]
	;; [unrolled: 1-line block ×3, first 2 shown]
	v_fma_f64 v[14:15], v[14:15], v[76:77], -v[94:95]
	v_fma_f64 v[92:93], v[10:11], v[68:69], -v[96:97]
	ds_load_b128 v[2:5], v255 offset:8320
	ds_load_b128 v[6:9], v255 offset:12480
	;; [unrolled: 1-line block ×3, first 2 shown]
	s_wait_loadcnt_dscnt 0x303
	v_mul_f64_e32 v[94:95], v[82:83], v[58:59]
	v_mul_f64_e32 v[96:97], v[80:81], v[58:59]
	v_fma_f64 v[64:65], v[64:65], v[40:41], -v[98:99]
	v_fma_f64 v[66:67], v[66:67], v[40:41], v[100:101]
	s_wait_loadcnt_dscnt 0x202
	v_mul_f64_e32 v[102:103], v[4:5], v[54:55]
	v_mul_f64_e32 v[104:105], v[2:3], v[54:55]
	s_wait_loadcnt_dscnt 0x101
	v_mul_f64_e32 v[106:107], v[8:9], v[50:51]
	s_wait_loadcnt_dscnt 0x0
	v_mul_f64_e32 v[108:109], v[12:13], v[46:47]
	v_mul_f64_e32 v[110:111], v[6:7], v[50:51]
	;; [unrolled: 1-line block ×3, first 2 shown]
	v_add_f64_e64 v[122:123], v[18:19], -v[86:87]
	v_add_f64_e64 v[126:127], v[86:87], -v[18:19]
	v_add_f64_e32 v[98:99], v[88:89], v[90:91]
	v_add_f64_e32 v[100:101], v[84:85], v[16:17]
	;; [unrolled: 1-line block ×4, first 2 shown]
	v_add_f64_e64 v[124:125], v[14:15], -v[92:93]
	v_fma_f64 v[80:81], v[80:81], v[56:57], -v[94:95]
	v_fma_f64 v[82:83], v[82:83], v[56:57], v[96:97]
	v_add_f64_e64 v[128:129], v[92:93], -v[14:15]
	v_add_f64_e64 v[130:131], v[84:85], -v[88:89]
	;; [unrolled: 1-line block ×5, first 2 shown]
	v_fma_f64 v[94:95], v[2:3], v[52:53], -v[102:103]
	v_fma_f64 v[96:97], v[4:5], v[52:53], v[104:105]
	v_fma_f64 v[6:7], v[6:7], v[48:49], -v[106:107]
	v_fma_f64 v[10:11], v[10:11], v[44:45], -v[108:109]
	v_fma_f64 v[8:9], v[8:9], v[48:49], v[110:111]
	v_fma_f64 v[12:13], v[12:13], v[44:45], v[112:113]
	v_add_f64_e64 v[102:103], v[84:85], -v[16:17]
	v_add_f64_e64 v[104:105], v[88:89], -v[90:91]
	;; [unrolled: 1-line block ×4, first 2 shown]
	ds_load_b128 v[2:5], v255
	v_add_f64_e32 v[18:19], v[64:65], v[18:19]
	global_wb scope:SCOPE_SE
	s_wait_dscnt 0x0
	s_barrier_signal -1
	s_barrier_wait -1
	global_inv scope:SCOPE_SE
	v_fma_f64 v[98:99], v[98:99], -0.5, v[66:67]
	v_fma_f64 v[100:101], v[100:101], -0.5, v[66:67]
	;; [unrolled: 1-line block ×4, first 2 shown]
	v_add_f64_e32 v[64:65], v[66:67], v[84:85]
	v_add_f64_e32 v[147:148], v[2:3], v[80:81]
	;; [unrolled: 1-line block ×7, first 2 shown]
	v_add_f64_e64 v[149:150], v[82:83], -v[12:13]
	v_add_f64_e64 v[151:152], v[96:97], -v[8:9]
	;; [unrolled: 1-line block ×4, first 2 shown]
	v_add_f64_e32 v[18:19], v[18:19], v[86:87]
	v_fma_f64 v[138:139], v[106:107], s[2:3], v[98:99]
	v_fma_f64 v[141:142], v[108:109], s[12:13], v[100:101]
	;; [unrolled: 1-line block ×8, first 2 shown]
	v_add_f64_e32 v[64:65], v[64:65], v[88:89]
	v_fma_f64 v[66:67], v[114:115], -0.5, v[2:3]
	v_fma_f64 v[2:3], v[116:117], -0.5, v[2:3]
	;; [unrolled: 1-line block ×4, first 2 shown]
	v_add_f64_e32 v[114:115], v[122:123], v[124:125]
	v_add_f64_e32 v[116:117], v[126:127], v[128:129]
	v_add_f64_e32 v[118:119], v[130:131], v[132:133]
	v_add_f64_e32 v[120:121], v[134:135], v[136:137]
	v_add_f64_e64 v[130:131], v[12:13], -v[8:9]
	v_add_f64_e64 v[132:133], v[8:9], -v[12:13]
	v_add_f64_e32 v[18:19], v[18:19], v[92:93]
	v_fma_f64 v[122:123], v[108:109], s[14:15], v[138:139]
	v_fma_f64 v[124:125], v[106:107], s[14:15], v[141:142]
	;; [unrolled: 1-line block ×8, first 2 shown]
	v_add_f64_e64 v[106:107], v[80:81], -v[94:95]
	v_add_f64_e64 v[108:109], v[10:11], -v[6:7]
	;; [unrolled: 1-line block ×6, first 2 shown]
	v_add_f64_e32 v[94:95], v[147:148], v[94:95]
	v_add_f64_e32 v[96:97], v[153:154], v[96:97]
	;; [unrolled: 1-line block ×3, first 2 shown]
	v_fma_f64 v[86:87], v[149:150], s[12:13], v[66:67]
	v_fma_f64 v[66:67], v[149:150], s[2:3], v[66:67]
	;; [unrolled: 1-line block ×16, first 2 shown]
	v_add_f64_e32 v[106:107], v[106:107], v[108:109]
	v_add_f64_e32 v[80:81], v[80:81], v[110:111]
	;; [unrolled: 1-line block ×6, first 2 shown]
	v_fma_f64 v[86:87], v[151:152], s[16:17], v[86:87]
	v_fma_f64 v[66:67], v[151:152], s[14:15], v[66:67]
	;; [unrolled: 1-line block ×8, first 2 shown]
	v_mul_f64_e32 v[94:95], s[16:17], v[122:123]
	v_mul_f64_e32 v[96:97], s[12:13], v[124:125]
	;; [unrolled: 1-line block ×8, first 2 shown]
	v_add_f64_e32 v[6:7], v[6:7], v[10:11]
	v_add_f64_e32 v[8:9], v[8:9], v[12:13]
	;; [unrolled: 1-line block ×4, first 2 shown]
	v_fma_f64 v[14:15], v[106:107], s[18:19], v[86:87]
	v_fma_f64 v[16:17], v[106:107], s[18:19], v[66:67]
	;; [unrolled: 1-line block ×10, first 2 shown]
	v_fma_f64 v[90:91], v[100:101], s[12:13], -v[110:111]
	v_fma_f64 v[100:101], v[98:99], s[16:17], -v[112:113]
	v_fma_f64 v[102:103], v[122:123], s[20:21], v[114:115]
	v_fma_f64 v[104:105], v[124:125], s[18:19], v[116:117]
	v_fma_f64 v[106:107], v[126:127], s[2:3], -v[118:119]
	v_fma_f64 v[118:119], v[128:129], s[14:15], -v[120:121]
	s_load_b64 s[2:3], s[0:1], 0x38
	v_add_co_u32 v180, s0, s8, v255
	s_wait_alu 0xf1ff
	v_add_co_ci_u32_e64 v181, null, s9, 0, s0
                                        ; implicit-def: $vgpr120_vgpr121
	v_add_f64_e32 v[136:137], v[6:7], v[10:11]
	v_add_f64_e32 v[138:139], v[8:9], v[12:13]
	v_add_f64_e64 v[112:113], v[6:7], -v[10:11]
	v_add_f64_e64 v[114:115], v[8:9], -v[12:13]
	v_add_f64_e32 v[80:81], v[14:15], v[86:87]
	v_add_f64_e32 v[92:93], v[18:19], v[88:89]
	;; [unrolled: 1-line block ×8, first 2 shown]
	v_add_f64_e64 v[124:125], v[14:15], -v[86:87]
	v_add_f64_e64 v[128:129], v[18:19], -v[88:89]
	;; [unrolled: 1-line block ×8, first 2 shown]
	v_and_b32_e32 v2, 0xffff, v20
                                        ; implicit-def: $vgpr100_vgpr101
                                        ; implicit-def: $vgpr104_vgpr105
	s_delay_alu instid0(VALU_DEP_1) | instskip(NEXT) | instid1(VALU_DEP_1)
	v_mul_u32_u24_e32 v0, 0x64, v2
	v_add_lshl_u32 v159, v0, v1, 4
	ds_store_b128 v159, v[136:139]
	ds_store_b128 v159, v[80:83] offset:160
	ds_store_b128 v159, v[92:95] offset:320
	;; [unrolled: 1-line block ×9, first 2 shown]
	global_wb scope:SCOPE_SE
	s_wait_dscnt 0x0
	s_wait_kmcnt 0x0
	s_barrier_signal -1
	s_barrier_wait -1
	global_inv scope:SCOPE_SE
	s_and_saveexec_b32 s0, vcc_lo
	s_cbranch_execz .LBB0_3
; %bb.2:
	ds_load_b128 v[136:139], v255
	ds_load_b128 v[80:83], v255 offset:1600
	ds_load_b128 v[92:95], v255 offset:3200
	;; [unrolled: 1-line block ×12, first 2 shown]
.LBB0_3:
	s_wait_alu 0xfffe
	s_or_b32 exec_lo, exec_lo, s0
	v_add_nc_u32_e32 v0, 0xffffff9c, v21
	scratch_store_b32 off, v21, off         ; 4-byte Folded Spill
	s_mov_b32 s14, 0x4267c47c
	s_mov_b32 s15, 0xbfddbe06
	;; [unrolled: 1-line block ×3, first 2 shown]
	v_cndmask_b32_e32 v0, v0, v21, vcc_lo
	s_mov_b32 s13, 0xbfea55e2
	s_mov_b32 s22, 0x66966769
	;; [unrolled: 1-line block ×4, first 2 shown]
	v_mul_i32_i24_e32 v1, 0xc0, v0
	v_mul_hi_i32_i24_e32 v2, 0xc0, v0
	s_mov_b32 s17, 0x3fbedb7d
	s_mov_b32 s26, 0x2ef20147
	;; [unrolled: 1-line block ×3, first 2 shown]
	v_add_co_u32 v0, s0, s10, v1
	s_wait_alu 0xf1ff
	v_add_co_ci_u32_e64 v1, s0, s11, v2, s0
	s_mov_b32 s10, 0xe00740e9
	s_mov_b32 s11, 0x3fec55a7
	;; [unrolled: 1-line block ×3, first 2 shown]
	s_clause 0x1
	global_load_b128 v[64:67], v[0:1], off offset:1440
	global_load_b128 v[84:87], v[0:1], off offset:1456
	s_mov_b32 s1, 0x3fe22d96
	s_mov_b32 s18, 0xb2365da1
	;; [unrolled: 1-line block ×16, first 2 shown]
	s_wait_alu 0xfffe
	s_mov_b32 s38, s14
	s_mov_b32 s41, 0x3fedeba7
	;; [unrolled: 1-line block ×3, first 2 shown]
	s_wait_loadcnt_dscnt 0x10b
	v_mul_f64_e32 v[2:3], v[82:83], v[66:67]
	s_delay_alu instid0(VALU_DEP_1) | instskip(SKIP_1) | instid1(VALU_DEP_1)
	v_fma_f64 v[243:244], v[80:81], v[64:65], -v[2:3]
	v_mul_f64_e32 v[2:3], v[80:81], v[66:67]
	v_fma_f64 v[245:246], v[82:83], v[64:65], v[2:3]
	s_clause 0x1
	global_load_b128 v[80:83], v[0:1], off offset:1616
	global_load_b128 v[88:91], v[0:1], off offset:1600
	s_wait_loadcnt_dscnt 0x100
	v_mul_f64_e32 v[2:3], v[104:105], v[82:83]
	s_delay_alu instid0(VALU_DEP_1) | instskip(SKIP_1) | instid1(VALU_DEP_2)
	v_fma_f64 v[22:23], v[106:107], v[80:81], v[2:3]
	v_mul_f64_e32 v[2:3], v[106:107], v[82:83]
	v_add_f64_e64 v[4:5], v[245:246], -v[22:23]
	s_delay_alu instid0(VALU_DEP_2) | instskip(SKIP_1) | instid1(VALU_DEP_2)
	v_fma_f64 v[24:25], v[104:105], v[80:81], -v[2:3]
	v_mul_f64_e32 v[2:3], v[94:95], v[86:87]
	v_add_f64_e64 v[10:11], v[243:244], -v[24:25]
	s_delay_alu instid0(VALU_DEP_2) | instskip(SKIP_1) | instid1(VALU_DEP_1)
	v_fma_f64 v[30:31], v[92:93], v[84:85], -v[2:3]
	v_mul_f64_e32 v[2:3], v[92:93], v[86:87]
	v_fma_f64 v[32:33], v[94:95], v[84:85], v[2:3]
	s_wait_loadcnt 0x0
	v_mul_f64_e32 v[2:3], v[100:101], v[90:91]
	s_delay_alu instid0(VALU_DEP_1) | instskip(SKIP_1) | instid1(VALU_DEP_2)
	v_fma_f64 v[26:27], v[102:103], v[88:89], v[2:3]
	v_mul_f64_e32 v[2:3], v[102:103], v[90:91]
	v_add_f64_e64 v[199:200], v[32:33], -v[26:27]
	s_delay_alu instid0(VALU_DEP_2)
	v_fma_f64 v[28:29], v[100:101], v[88:89], -v[2:3]
	s_clause 0x1
	global_load_b128 v[92:95], v[0:1], off offset:1472
	global_load_b128 v[100:103], v[0:1], off offset:1488
	v_add_f64_e32 v[191:192], v[32:33], v[26:27]
	v_mul_f64_e32 v[205:206], s[12:13], v[199:200]
	v_add_f64_e32 v[187:188], v[30:31], v[28:29]
	v_add_f64_e64 v[201:202], v[30:31], -v[28:29]
	s_delay_alu instid0(VALU_DEP_2) | instskip(NEXT) | instid1(VALU_DEP_2)
	v_fma_f64 v[8:9], v[187:188], s[0:1], v[205:206]
	v_mul_f64_e32 v[209:210], s[12:13], v[201:202]
	v_mul_f64_e32 v[189:190], s[26:27], v[201:202]
	s_delay_alu instid0(VALU_DEP_2) | instskip(SKIP_2) | instid1(VALU_DEP_1)
	v_fma_f64 v[16:17], v[191:192], s[0:1], -v[209:210]
	s_wait_loadcnt 0x1
	v_mul_f64_e32 v[2:3], v[98:99], v[94:95]
	v_fma_f64 v[36:37], v[96:97], v[92:93], -v[2:3]
	v_mul_f64_e32 v[2:3], v[96:97], v[94:95]
	s_delay_alu instid0(VALU_DEP_1)
	v_fma_f64 v[34:35], v[98:99], v[92:93], v[2:3]
	s_clause 0x1
	global_load_b128 v[96:99], v[0:1], off offset:1584
	global_load_b128 v[104:107], v[0:1], off offset:1568
	s_wait_loadcnt 0x1
	v_mul_f64_e32 v[2:3], v[122:123], v[98:99]
	s_delay_alu instid0(VALU_DEP_1) | instskip(SKIP_1) | instid1(VALU_DEP_2)
	v_fma_f64 v[38:39], v[120:121], v[96:97], -v[2:3]
	v_mul_f64_e32 v[2:3], v[120:121], v[98:99]
	v_add_f64_e32 v[195:196], v[36:37], v[38:39]
	s_delay_alu instid0(VALU_DEP_2) | instskip(SKIP_2) | instid1(VALU_DEP_3)
	v_fma_f64 v[160:161], v[122:123], v[96:97], v[2:3]
	v_mul_f64_e32 v[2:3], v[110:111], v[102:103]
	v_add_f64_e64 v[219:220], v[36:37], -v[38:39]
	v_add_f64_e64 v[221:222], v[34:35], -v[160:161]
	s_delay_alu instid0(VALU_DEP_3)
	v_fma_f64 v[166:167], v[108:109], v[100:101], -v[2:3]
	v_mul_f64_e32 v[2:3], v[108:109], v[102:103]
	v_add_f64_e32 v[207:208], v[34:35], v[160:161]
	v_mul_f64_e32 v[225:226], s[22:23], v[219:220]
	v_mul_f64_e32 v[145:146], s[30:31], v[219:220]
	;; [unrolled: 1-line block ×5, first 2 shown]
	v_fma_f64 v[168:169], v[110:111], v[100:101], v[2:3]
	s_wait_loadcnt 0x0
	v_mul_f64_e32 v[2:3], v[118:119], v[106:107]
	s_delay_alu instid0(VALU_DEP_1) | instskip(SKIP_1) | instid1(VALU_DEP_2)
	v_fma_f64 v[162:163], v[116:117], v[104:105], -v[2:3]
	v_mul_f64_e32 v[2:3], v[116:117], v[106:107]
	v_add_f64_e32 v[203:204], v[166:167], v[162:163]
	s_delay_alu instid0(VALU_DEP_2)
	v_fma_f64 v[164:165], v[118:119], v[104:105], v[2:3]
	s_clause 0x1
	global_load_b128 v[108:111], v[0:1], off offset:1504
	global_load_b128 v[116:119], v[0:1], off offset:1520
	v_add_f64_e64 v[235:236], v[166:167], -v[162:163]
	v_add_f64_e64 v[239:240], v[168:169], -v[164:165]
	v_add_f64_e32 v[211:212], v[168:169], v[164:165]
	s_delay_alu instid0(VALU_DEP_3) | instskip(SKIP_1) | instid1(VALU_DEP_4)
	v_mul_f64_e32 v[229:230], s[26:27], v[235:236]
	v_mul_f64_e32 v[193:194], s[34:35], v[235:236]
	;; [unrolled: 1-line block ×4, first 2 shown]
	s_wait_loadcnt 0x1
	v_mul_f64_e32 v[2:3], v[114:115], v[110:111]
	s_delay_alu instid0(VALU_DEP_1) | instskip(SKIP_1) | instid1(VALU_DEP_1)
	v_fma_f64 v[170:171], v[112:113], v[108:109], -v[2:3]
	v_mul_f64_e32 v[2:3], v[112:113], v[110:111]
	v_fma_f64 v[172:173], v[114:115], v[108:109], v[2:3]
	s_clause 0x1
	global_load_b128 v[112:115], v[0:1], off offset:1552
	global_load_b128 v[120:123], v[0:1], off offset:1536
	v_mul_f64_e32 v[2:3], s[14:15], v[4:5]
	scratch_store_b64 off, v[20:21], off offset:212 ; 8-byte Folded Spill
	s_wait_loadcnt 0x1
	v_mul_f64_e32 v[0:1], v[134:135], v[114:115]
	s_delay_alu instid0(VALU_DEP_1) | instskip(SKIP_1) | instid1(VALU_DEP_2)
	v_fma_f64 v[174:175], v[132:133], v[112:113], -v[0:1]
	v_mul_f64_e32 v[0:1], v[132:133], v[114:115]
	v_add_f64_e32 v[215:216], v[170:171], v[174:175]
	s_delay_alu instid0(VALU_DEP_2) | instskip(SKIP_2) | instid1(VALU_DEP_3)
	v_fma_f64 v[176:177], v[134:135], v[112:113], v[0:1]
	v_mul_f64_e32 v[0:1], v[126:127], v[118:119]
	v_add_f64_e64 v[237:238], v[170:171], -v[174:175]
	v_add_f64_e64 v[247:248], v[172:173], -v[176:177]
	s_delay_alu instid0(VALU_DEP_3) | instskip(SKIP_4) | instid1(VALU_DEP_4)
	v_fma_f64 v[178:179], v[124:125], v[116:117], -v[0:1]
	v_mul_f64_e32 v[0:1], v[124:125], v[118:119]
	v_add_f64_e32 v[227:228], v[172:173], v[176:177]
	v_mul_f64_e32 v[147:148], s[36:37], v[237:238]
	v_mul_f64_e32 v[253:254], s[28:29], v[247:248]
	v_fma_f64 v[182:183], v[126:127], v[116:117], v[0:1]
	s_wait_loadcnt 0x0
	v_mul_f64_e32 v[0:1], v[130:131], v[122:123]
	s_delay_alu instid0(VALU_DEP_1) | instskip(SKIP_2) | instid1(VALU_DEP_3)
	v_fma_f64 v[141:142], v[128:129], v[120:121], -v[0:1]
	v_mul_f64_e32 v[0:1], v[128:129], v[122:123]
	v_fma_f64 v[128:129], v[191:192], s[18:19], -v[189:190]
	v_add_f64_e32 v[223:224], v[178:179], v[141:142]
	s_delay_alu instid0(VALU_DEP_3) | instskip(SKIP_2) | instid1(VALU_DEP_3)
	v_fma_f64 v[184:185], v[130:131], v[120:121], v[0:1]
	v_add_f64_e32 v[0:1], v[243:244], v[24:25]
	v_add_f64_e64 v[241:242], v[178:179], -v[141:142]
	v_add_f64_e64 v[249:250], v[182:183], -v[184:185]
	s_delay_alu instid0(VALU_DEP_3) | instskip(SKIP_1) | instid1(VALU_DEP_4)
	v_fma_f64 v[6:7], v[0:1], s[10:11], v[2:3]
	v_add_f64_e32 v[231:232], v[182:183], v[184:185]
	v_mul_f64_e32 v[143:144], s[38:39], v[241:242]
	v_mul_f64_e32 v[151:152], s[28:29], v[241:242]
	s_delay_alu instid0(VALU_DEP_4) | instskip(NEXT) | instid1(VALU_DEP_1)
	v_add_f64_e32 v[6:7], v[136:137], v[6:7]
	v_add_f64_e32 v[12:13], v[8:9], v[6:7]
	;; [unrolled: 1-line block ×3, first 2 shown]
	v_mul_f64_e32 v[8:9], s[14:15], v[10:11]
	s_delay_alu instid0(VALU_DEP_1) | instskip(NEXT) | instid1(VALU_DEP_1)
	v_fma_f64 v[14:15], v[6:7], s[10:11], -v[8:9]
	v_add_f64_e32 v[14:15], v[138:139], v[14:15]
	s_delay_alu instid0(VALU_DEP_1) | instskip(SKIP_1) | instid1(VALU_DEP_1)
	v_add_f64_e32 v[14:15], v[16:17], v[14:15]
	v_fma_f64 v[16:17], v[195:196], s[16:17], v[213:214]
	v_add_f64_e32 v[12:13], v[16:17], v[12:13]
	v_fma_f64 v[16:17], v[207:208], s[16:17], -v[225:226]
	s_delay_alu instid0(VALU_DEP_1) | instskip(SKIP_1) | instid1(VALU_DEP_1)
	v_add_f64_e32 v[14:15], v[16:17], v[14:15]
	v_fma_f64 v[16:17], v[203:204], s[18:19], v[251:252]
	v_add_f64_e32 v[12:13], v[16:17], v[12:13]
	v_fma_f64 v[16:17], v[211:212], s[18:19], -v[229:230]
	s_delay_alu instid0(VALU_DEP_1) | instskip(SKIP_1) | instid1(VALU_DEP_1)
	v_add_f64_e32 v[14:15], v[16:17], v[14:15]
	v_fma_f64 v[16:17], v[215:216], s[20:21], v[253:254]
	v_add_f64_e32 v[12:13], v[16:17], v[12:13]
	v_mul_f64_e32 v[16:17], s[28:29], v[237:238]
	scratch_store_b64 off, v[16:17], off offset:180 ; 8-byte Folded Spill
	v_fma_f64 v[16:17], v[227:228], s[20:21], -v[16:17]
	s_delay_alu instid0(VALU_DEP_1) | instskip(SKIP_3) | instid1(VALU_DEP_1)
	v_add_f64_e32 v[14:15], v[16:17], v[14:15]
	v_mul_f64_e32 v[16:17], s[30:31], v[249:250]
	scratch_store_b64 off, v[16:17], off offset:172 ; 8-byte Folded Spill
	v_fma_f64 v[16:17], v[223:224], s[24:25], v[16:17]
	v_add_f64_e32 v[124:125], v[16:17], v[12:13]
	v_mul_f64_e32 v[12:13], s[30:31], v[241:242]
	v_mul_f64_e32 v[16:17], s[26:27], v[199:200]
	s_clause 0x1
	scratch_store_b64 off, v[12:13], off offset:188
	scratch_store_b64 off, v[16:17], off offset:196
	v_fma_f64 v[12:13], v[231:232], s[24:25], -v[12:13]
	v_fma_f64 v[16:17], v[187:188], s[18:19], v[16:17]
	s_delay_alu instid0(VALU_DEP_2) | instskip(SKIP_1) | instid1(VALU_DEP_1)
	v_add_f64_e32 v[126:127], v[12:13], v[14:15]
	v_mul_f64_e32 v[12:13], s[12:13], v[4:5]
	v_fma_f64 v[14:15], v[0:1], s[0:1], v[12:13]
	s_delay_alu instid0(VALU_DEP_1) | instskip(NEXT) | instid1(VALU_DEP_1)
	v_add_f64_e32 v[14:15], v[136:137], v[14:15]
	v_add_f64_e32 v[16:17], v[16:17], v[14:15]
	v_mul_f64_e32 v[14:15], s[12:13], v[10:11]
	s_delay_alu instid0(VALU_DEP_1) | instskip(NEXT) | instid1(VALU_DEP_1)
	v_fma_f64 v[18:19], v[6:7], s[0:1], -v[14:15]
	v_add_f64_e32 v[18:19], v[138:139], v[18:19]
	s_delay_alu instid0(VALU_DEP_1) | instskip(SKIP_2) | instid1(VALU_DEP_2)
	v_add_f64_e32 v[18:19], v[128:129], v[18:19]
	v_fma_f64 v[128:129], v[195:196], s[24:25], v[20:21]
	v_mul_f64_e32 v[20:21], s[36:37], v[247:248]
	v_add_f64_e32 v[16:17], v[128:129], v[16:17]
	v_fma_f64 v[128:129], v[207:208], s[24:25], -v[145:146]
	scratch_store_b64 off, v[20:21], off offset:220 ; 8-byte Folded Spill
	v_add_f64_e32 v[18:19], v[128:129], v[18:19]
	v_fma_f64 v[128:129], v[203:204], s[20:21], v[197:198]
	s_delay_alu instid0(VALU_DEP_1) | instskip(SKIP_1) | instid1(VALU_DEP_1)
	v_add_f64_e32 v[16:17], v[128:129], v[16:17]
	v_fma_f64 v[128:129], v[211:212], s[20:21], -v[193:194]
	v_add_f64_e32 v[18:19], v[128:129], v[18:19]
	v_fma_f64 v[128:129], v[215:216], s[16:17], v[20:21]
	v_mul_f64_e32 v[20:21], s[38:39], v[249:250]
	s_delay_alu instid0(VALU_DEP_2)
	v_add_f64_e32 v[16:17], v[128:129], v[16:17]
	v_fma_f64 v[128:129], v[227:228], s[16:17], -v[147:148]
	scratch_store_b64 off, v[20:21], off offset:228 ; 8-byte Folded Spill
	v_add_f64_e32 v[18:19], v[128:129], v[18:19]
	v_fma_f64 v[128:129], v[223:224], s[10:11], v[20:21]
	v_mul_f64_e32 v[20:21], s[30:31], v[199:200]
	s_delay_alu instid0(VALU_DEP_2) | instskip(SKIP_1) | instid1(VALU_DEP_3)
	v_add_f64_e32 v[128:129], v[128:129], v[16:17]
	v_fma_f64 v[16:17], v[231:232], s[10:11], -v[143:144]
	v_fma_f64 v[132:133], v[187:188], s[24:25], v[20:21]
	scratch_store_b64 off, v[20:21], off offset:204 ; 8-byte Folded Spill
	v_mul_f64_e32 v[20:21], s[30:31], v[201:202]
	v_add_f64_e32 v[130:131], v[16:17], v[18:19]
	v_mul_f64_e32 v[16:17], s[22:23], v[4:5]
	s_delay_alu instid0(VALU_DEP_3)
	v_fma_f64 v[149:150], v[191:192], s[24:25], -v[20:21]
	scratch_store_b64 off, v[20:21], off offset:236 ; 8-byte Folded Spill
	v_mul_f64_e32 v[20:21], s[38:39], v[239:240]
	v_fma_f64 v[18:19], v[0:1], s[16:17], v[16:17]
	scratch_store_b64 off, v[20:21], off offset:244 ; 8-byte Folded Spill
	v_add_f64_e32 v[18:19], v[136:137], v[18:19]
	s_delay_alu instid0(VALU_DEP_1) | instskip(SKIP_1) | instid1(VALU_DEP_1)
	v_add_f64_e32 v[132:133], v[132:133], v[18:19]
	v_mul_f64_e32 v[18:19], s[22:23], v[10:11]
	v_fma_f64 v[134:135], v[6:7], s[16:17], -v[18:19]
	s_delay_alu instid0(VALU_DEP_1) | instskip(NEXT) | instid1(VALU_DEP_1)
	v_add_f64_e32 v[134:135], v[138:139], v[134:135]
	v_add_f64_e32 v[134:135], v[149:150], v[134:135]
	v_mul_f64_e32 v[149:150], s[40:41], v[221:222]
	s_delay_alu instid0(VALU_DEP_1) | instskip(NEXT) | instid1(VALU_DEP_1)
	v_fma_f64 v[153:154], v[195:196], s[18:19], v[149:150]
	v_add_f64_e32 v[132:133], v[153:154], v[132:133]
	v_fma_f64 v[153:154], v[207:208], s[18:19], -v[155:156]
	s_delay_alu instid0(VALU_DEP_1) | instskip(SKIP_2) | instid1(VALU_DEP_2)
	v_add_f64_e32 v[134:135], v[153:154], v[134:135]
	v_fma_f64 v[153:154], v[203:204], s[10:11], v[20:21]
	v_mul_f64_e32 v[20:21], s[12:13], v[247:248]
	v_add_f64_e32 v[132:133], v[153:154], v[132:133]
	v_mul_f64_e32 v[153:154], s[38:39], v[235:236]
	scratch_store_b64 off, v[20:21], off offset:252 ; 8-byte Folded Spill
	v_fma_f64 v[157:158], v[211:212], s[10:11], -v[153:154]
	s_delay_alu instid0(VALU_DEP_1) | instskip(SKIP_2) | instid1(VALU_DEP_2)
	v_add_f64_e32 v[134:135], v[157:158], v[134:135]
	v_fma_f64 v[157:158], v[215:216], s[0:1], v[20:21]
	v_fma_f64 v[20:21], v[231:232], s[20:21], -v[151:152]
	v_add_f64_e32 v[132:133], v[157:158], v[132:133]
	v_mul_f64_e32 v[157:158], s[12:13], v[237:238]
	s_delay_alu instid0(VALU_DEP_1) | instskip(NEXT) | instid1(VALU_DEP_1)
	v_fma_f64 v[217:218], v[227:228], s[0:1], -v[157:158]
	v_add_f64_e32 v[134:135], v[217:218], v[134:135]
	v_mul_f64_e32 v[217:218], s[28:29], v[249:250]
	s_delay_alu instid0(VALU_DEP_2) | instskip(NEXT) | instid1(VALU_DEP_2)
	v_add_f64_e32 v[134:135], v[20:21], v[134:135]
	v_fma_f64 v[233:234], v[223:224], s[20:21], v[217:218]
	s_delay_alu instid0(VALU_DEP_1)
	v_add_f64_e32 v[132:133], v[233:234], v[132:133]
	s_and_saveexec_b32 s33, vcc_lo
	s_cbranch_execz .LBB0_5
; %bb.4:
	s_clause 0x3
	scratch_store_b64 off, v[22:23], off offset:260
	scratch_store_b64 off, v[24:25], off offset:268
	;; [unrolled: 1-line block ×4, first 2 shown]
	v_mul_f64_e32 v[160:161], s[20:21], v[6:7]
	v_mul_f64_e32 v[20:21], s[24:25], v[6:7]
	s_mov_b32 s43, 0x3fcea1e5
	s_mov_b32 s42, s30
	s_clause 0x3
	scratch_store_b64 off, v[162:163], off offset:292
	scratch_store_b64 off, v[28:29], off offset:300
	;; [unrolled: 1-line block ×4, first 2 shown]
	s_mov_b32 s45, 0x3fea55e2
	s_mov_b32 s44, s12
	v_dual_mov_b32 v234, v142 :: v_dual_mov_b32 v233, v141
	v_dual_mov_b32 v141, v176 :: v_dual_mov_b32 v142, v177
	;; [unrolled: 1-line block ×5, first 2 shown]
	v_mul_f64_e32 v[32:33], s[26:27], v[249:250]
	scratch_store_b64 off, v[166:167], off offset:380 ; 8-byte Folded Spill
	v_mul_f64_e32 v[166:167], s[16:17], v[231:232]
	scratch_store_b64 off, v[174:175], off offset:388 ; 8-byte Folded Spill
	v_dual_mov_b32 v175, v169 :: v_dual_mov_b32 v174, v168
	v_mul_f64_e32 v[168:169], s[36:37], v[249:250]
	v_fma_f64 v[24:25], v[10:11], s[34:35], v[160:161]
	v_fma_f64 v[26:27], v[10:11], s[28:29], v[160:161]
	v_mul_f64_e32 v[160:161], s[18:19], v[6:7]
	v_fma_f64 v[22:23], v[10:11], s[42:43], v[20:21]
	v_fma_f64 v[20:21], v[10:11], s[30:31], v[20:21]
	v_add_f64_e32 v[24:25], v[138:139], v[24:25]
	s_delay_alu instid0(VALU_DEP_4) | instskip(SKIP_3) | instid1(VALU_DEP_2)
	v_fma_f64 v[162:163], v[10:11], s[40:41], v[160:161]
	v_fma_f64 v[10:11], v[10:11], s[26:27], v[160:161]
	v_mul_f64_e32 v[160:161], s[16:17], v[6:7]
	v_add_f64_e32 v[20:21], v[138:139], v[20:21]
	v_add_f64_e32 v[18:19], v[18:19], v[160:161]
	v_mul_f64_e32 v[160:161], s[16:17], v[0:1]
	s_delay_alu instid0(VALU_DEP_2) | instskip(NEXT) | instid1(VALU_DEP_2)
	v_add_f64_e32 v[18:19], v[138:139], v[18:19]
	v_add_f64_e64 v[16:17], v[160:161], -v[16:17]
	v_mul_f64_e32 v[160:161], s[0:1], v[6:7]
	v_mul_f64_e32 v[6:7], s[10:11], v[6:7]
	s_delay_alu instid0(VALU_DEP_3) | instskip(NEXT) | instid1(VALU_DEP_3)
	v_add_f64_e32 v[16:17], v[136:137], v[16:17]
	v_add_f64_e32 v[14:15], v[14:15], v[160:161]
	v_mul_f64_e32 v[160:161], s[0:1], v[0:1]
	s_delay_alu instid0(VALU_DEP_4) | instskip(SKIP_1) | instid1(VALU_DEP_4)
	v_add_f64_e32 v[6:7], v[8:9], v[6:7]
	v_mul_f64_e32 v[8:9], s[30:31], v[4:5]
	v_add_f64_e32 v[14:15], v[138:139], v[14:15]
	s_delay_alu instid0(VALU_DEP_4)
	v_add_f64_e64 v[12:13], v[160:161], -v[12:13]
	v_mul_f64_e32 v[160:161], s[28:29], v[4:5]
	v_mul_f64_e32 v[4:5], s[26:27], v[4:5]
	v_fma_f64 v[28:29], v[0:1], s[24:25], v[8:9]
	v_fma_f64 v[8:9], v[0:1], s[24:25], -v[8:9]
	v_add_f64_e32 v[12:13], v[136:137], v[12:13]
	v_fma_f64 v[30:31], v[0:1], s[20:21], v[160:161]
	v_fma_f64 v[160:161], v[0:1], s[20:21], -v[160:161]
	v_fma_f64 v[164:165], v[0:1], s[18:19], v[4:5]
	v_fma_f64 v[4:5], v[0:1], s[18:19], -v[4:5]
	v_mul_f64_e32 v[0:1], s[10:11], v[0:1]
	v_add_f64_e32 v[8:9], v[136:137], v[8:9]
	s_delay_alu instid0(VALU_DEP_2) | instskip(SKIP_1) | instid1(VALU_DEP_2)
	v_add_f64_e64 v[0:1], v[0:1], -v[2:3]
	v_add_f64_e32 v[2:3], v[138:139], v[245:246]
	v_add_f64_e32 v[0:1], v[136:137], v[0:1]
	scratch_store_b64 off, v[2:3], off offset:324 ; 8-byte Folded Spill
	v_add_f64_e32 v[2:3], v[136:137], v[243:244]
	s_clause 0x1
	scratch_store_b64 off, v[0:1], off offset:348
	scratch_store_b64 off, v[2:3], off offset:332
	v_add_f64_e32 v[2:3], v[138:139], v[22:23]
	v_add_f64_e32 v[22:23], v[136:137], v[28:29]
	;; [unrolled: 1-line block ×5, first 2 shown]
	v_dual_mov_b32 v161, v39 :: v_dual_mov_b32 v160, v38
	v_dual_mov_b32 v39, v35 :: v_dual_mov_b32 v38, v34
	v_mul_f64_e32 v[34:35], s[24:25], v[207:208]
	scratch_store_b64 off, v[26:27], off offset:372 ; 8-byte Folded Spill
	v_add_f64_e32 v[26:27], v[138:139], v[162:163]
	v_add_f64_e32 v[34:35], v[145:146], v[34:35]
	scratch_load_b64 v[145:146], off, off offset:196 th:TH_LOAD_LU ; 8-byte Folded Reload
	scratch_store_b64 off, v[26:27], off offset:364 ; 8-byte Folded Spill
	v_add_f64_e32 v[26:27], v[136:137], v[164:165]
	v_add_f64_e32 v[164:165], v[138:139], v[10:11]
	v_mul_f64_e32 v[10:11], s[20:21], v[207:208]
	scratch_store_b64 off, v[26:27], off offset:356 ; 8-byte Folded Spill
	v_add_f64_e32 v[26:27], v[136:137], v[4:5]
	v_add_f64_e32 v[4:5], v[138:139], v[6:7]
	v_mul_f64_e32 v[6:7], s[38:39], v[199:200]
	scratch_store_b64 off, v[4:5], off offset:340 ; 8-byte Folded Spill
	v_mul_f64_e32 v[4:5], s[10:11], v[191:192]
	s_delay_alu instid0(VALU_DEP_1) | instskip(SKIP_1) | instid1(VALU_DEP_2)
	v_fma_f64 v[0:1], v[201:202], s[14:15], v[4:5]
	v_fma_f64 v[4:5], v[201:202], s[38:39], v[4:5]
	v_add_f64_e32 v[0:1], v[0:1], v[2:3]
	v_fma_f64 v[2:3], v[187:188], s[10:11], v[6:7]
	v_fma_f64 v[6:7], v[187:188], s[10:11], -v[6:7]
	s_delay_alu instid0(VALU_DEP_4) | instskip(SKIP_1) | instid1(VALU_DEP_4)
	v_add_f64_e32 v[4:5], v[4:5], v[20:21]
	v_mul_f64_e32 v[20:21], s[16:17], v[191:192]
	v_add_f64_e32 v[2:3], v[2:3], v[22:23]
	v_fma_f64 v[22:23], v[219:220], s[34:35], v[10:11]
	v_add_f64_e32 v[6:7], v[6:7], v[8:9]
	v_fma_f64 v[8:9], v[219:220], s[28:29], v[10:11]
	v_fma_f64 v[10:11], v[223:224], s[16:17], -v[168:169]
	s_delay_alu instid0(VALU_DEP_4) | instskip(SKIP_1) | instid1(VALU_DEP_4)
	v_add_f64_e32 v[0:1], v[22:23], v[0:1]
	v_mul_f64_e32 v[22:23], s[28:29], v[221:222]
	v_add_f64_e32 v[4:5], v[8:9], v[4:5]
	s_delay_alu instid0(VALU_DEP_2) | instskip(SKIP_2) | instid1(VALU_DEP_3)
	v_fma_f64 v[136:137], v[195:196], s[20:21], v[22:23]
	v_fma_f64 v[8:9], v[195:196], s[20:21], -v[22:23]
	v_mul_f64_e32 v[22:23], s[36:37], v[199:200]
	v_add_f64_e32 v[2:3], v[136:137], v[2:3]
	v_mul_f64_e32 v[136:137], s[0:1], v[211:212]
	s_delay_alu instid0(VALU_DEP_4) | instskip(NEXT) | instid1(VALU_DEP_2)
	v_add_f64_e32 v[6:7], v[8:9], v[6:7]
	v_fma_f64 v[138:139], v[235:236], s[12:13], v[136:137]
	v_fma_f64 v[8:9], v[235:236], s[44:45], v[136:137]
	s_delay_alu instid0(VALU_DEP_2) | instskip(SKIP_1) | instid1(VALU_DEP_3)
	v_add_f64_e32 v[0:1], v[138:139], v[0:1]
	v_mul_f64_e32 v[138:139], s[44:45], v[239:240]
	v_add_f64_e32 v[4:5], v[8:9], v[4:5]
	s_delay_alu instid0(VALU_DEP_2) | instskip(SKIP_2) | instid1(VALU_DEP_3)
	v_fma_f64 v[245:246], v[203:204], s[0:1], v[138:139]
	v_fma_f64 v[8:9], v[203:204], s[0:1], -v[138:139]
	v_mul_f64_e32 v[138:139], s[18:19], v[187:188]
	v_add_f64_e32 v[2:3], v[245:246], v[2:3]
	v_mul_f64_e32 v[245:246], s[18:19], v[227:228]
	s_delay_alu instid0(VALU_DEP_4) | instskip(NEXT) | instid1(VALU_DEP_2)
	v_add_f64_e32 v[6:7], v[8:9], v[6:7]
	v_fma_f64 v[243:244], v[237:238], s[40:41], v[245:246]
	v_fma_f64 v[8:9], v[237:238], s[26:27], v[245:246]
	v_mul_f64_e32 v[245:246], s[18:19], v[231:232]
	s_delay_alu instid0(VALU_DEP_3) | instskip(SKIP_1) | instid1(VALU_DEP_4)
	v_add_f64_e32 v[0:1], v[243:244], v[0:1]
	v_mul_f64_e32 v[243:244], s[26:27], v[247:248]
	v_add_f64_e32 v[4:5], v[8:9], v[4:5]
	s_delay_alu instid0(VALU_DEP_2) | instskip(SKIP_2) | instid1(VALU_DEP_3)
	v_fma_f64 v[8:9], v[215:216], s[18:19], -v[243:244]
	v_fma_f64 v[162:163], v[215:216], s[18:19], v[243:244]
	v_mul_f64_e32 v[243:244], s[38:39], v[247:248]
	v_add_f64_e32 v[8:9], v[8:9], v[6:7]
	v_fma_f64 v[6:7], v[241:242], s[36:37], v[166:167]
	s_delay_alu instid0(VALU_DEP_4) | instskip(SKIP_2) | instid1(VALU_DEP_4)
	v_add_f64_e32 v[162:163], v[162:163], v[2:3]
	v_fma_f64 v[2:3], v[241:242], s[22:23], v[166:167]
	v_mul_f64_e32 v[166:167], s[42:43], v[239:240]
	v_add_f64_e32 v[6:7], v[6:7], v[4:5]
	v_add_f64_e32 v[4:5], v[10:11], v[8:9]
	v_fma_f64 v[8:9], v[201:202], s[22:23], v[20:21]
	v_fma_f64 v[10:11], v[187:188], s[16:17], v[22:23]
	v_add_f64_e32 v[2:3], v[2:3], v[0:1]
	v_fma_f64 v[0:1], v[223:224], s[16:17], v[168:169]
	v_mul_f64_e32 v[168:169], s[10:11], v[227:228]
	v_fma_f64 v[20:21], v[201:202], s[36:37], v[20:21]
	v_fma_f64 v[22:23], v[187:188], s[16:17], -v[22:23]
	v_add_f64_e32 v[8:9], v[8:9], v[24:25]
	v_mul_f64_e32 v[24:25], s[0:1], v[207:208]
	v_add_f64_e32 v[10:11], v[10:11], v[28:29]
	v_add_f64_e32 v[0:1], v[0:1], v[162:163]
	v_mul_f64_e32 v[162:163], s[24:25], v[211:212]
	v_add_f64_e32 v[20:21], v[20:21], v[30:31]
	scratch_load_b64 v[30:31], off, off offset:364 th:TH_LOAD_LU ; 8-byte Folded Reload
	v_fma_f64 v[28:29], v[219:220], s[44:45], v[24:25]
	v_fma_f64 v[24:25], v[219:220], s[12:13], v[24:25]
	s_delay_alu instid0(VALU_DEP_2) | instskip(SKIP_1) | instid1(VALU_DEP_3)
	v_add_f64_e32 v[8:9], v[28:29], v[8:9]
	v_mul_f64_e32 v[28:29], s[12:13], v[221:222]
	v_add_f64_e32 v[20:21], v[24:25], v[20:21]
	s_delay_alu instid0(VALU_DEP_2) | instskip(SKIP_1) | instid1(VALU_DEP_2)
	v_fma_f64 v[136:137], v[195:196], s[0:1], v[28:29]
	v_fma_f64 v[24:25], v[195:196], s[0:1], -v[28:29]
	v_add_f64_e32 v[10:11], v[136:137], v[10:11]
	v_fma_f64 v[136:137], v[235:236], s[30:31], v[162:163]
	s_delay_alu instid0(VALU_DEP_1) | instskip(SKIP_1) | instid1(VALU_DEP_1)
	v_add_f64_e32 v[8:9], v[136:137], v[8:9]
	v_fma_f64 v[136:137], v[203:204], s[24:25], v[166:167]
	v_add_f64_e32 v[10:11], v[136:137], v[10:11]
	v_fma_f64 v[136:137], v[237:238], s[14:15], v[168:169]
	s_delay_alu instid0(VALU_DEP_1) | instskip(SKIP_1) | instid1(VALU_DEP_1)
	v_add_f64_e32 v[8:9], v[136:137], v[8:9]
	v_fma_f64 v[136:137], v[215:216], s[10:11], v[243:244]
	;; [unrolled: 5-line block ×3, first 2 shown]
	v_add_f64_e32 v[8:9], v[8:9], v[136:137]
	v_mul_f64_e32 v[136:137], s[18:19], v[191:192]
	s_delay_alu instid0(VALU_DEP_1) | instskip(SKIP_3) | instid1(VALU_DEP_2)
	v_add_f64_e32 v[136:137], v[189:190], v[136:137]
	scratch_load_b64 v[189:190], off, off offset:212 th:TH_LOAD_LU ; 8-byte Folded Reload
	v_add_f64_e32 v[14:15], v[136:137], v[14:15]
	v_mul_f64_e32 v[136:137], s[16:17], v[215:216]
	v_add_f64_e32 v[14:15], v[34:35], v[14:15]
	v_mul_f64_e32 v[34:35], s[10:11], v[231:232]
	s_delay_alu instid0(VALU_DEP_1) | instskip(SKIP_4) | instid1(VALU_DEP_2)
	v_add_f64_e32 v[34:35], v[143:144], v[34:35]
	scratch_load_b64 v[143:144], off, off offset:228 th:TH_LOAD_LU ; 8-byte Folded Reload
	s_wait_loadcnt 0x3
	v_add_f64_e64 v[138:139], v[138:139], -v[145:146]
	v_mul_f64_e32 v[145:146], s[24:25], v[195:196]
	v_add_f64_e32 v[12:13], v[138:139], v[12:13]
	scratch_load_b64 v[138:139], off, off offset:220 th:TH_LOAD_LU ; 8-byte Folded Reload
	s_wait_loadcnt 0x2
	v_add_f64_e64 v[145:146], v[145:146], -v[189:190]
	v_mul_f64_e32 v[189:190], s[20:21], v[211:212]
	s_delay_alu instid0(VALU_DEP_2) | instskip(NEXT) | instid1(VALU_DEP_2)
	v_add_f64_e32 v[12:13], v[145:146], v[12:13]
	v_add_f64_e32 v[189:190], v[193:194], v[189:190]
	v_mul_f64_e32 v[193:194], s[20:21], v[203:204]
	scratch_load_b64 v[145:146], off, off offset:204 th:TH_LOAD_LU ; 8-byte Folded Reload
	v_add_f64_e32 v[14:15], v[189:190], v[14:15]
	v_add_f64_e64 v[193:194], v[193:194], -v[197:198]
	v_mul_f64_e32 v[197:198], s[16:17], v[227:228]
	v_mul_f64_e32 v[189:190], s[44:45], v[249:250]
	s_delay_alu instid0(VALU_DEP_3) | instskip(NEXT) | instid1(VALU_DEP_3)
	v_add_f64_e32 v[12:13], v[193:194], v[12:13]
	v_add_f64_e32 v[147:148], v[147:148], v[197:198]
	v_mul_f64_e32 v[193:194], s[0:1], v[231:232]
	s_wait_loadcnt 0x1
	v_add_f64_e64 v[136:137], v[136:137], -v[138:139]
	v_mul_f64_e32 v[138:139], s[10:11], v[223:224]
	s_delay_alu instid0(VALU_DEP_4)
	v_add_f64_e32 v[14:15], v[147:148], v[14:15]
	v_mul_f64_e32 v[147:148], s[10:11], v[203:204]
	v_fma_f64 v[28:29], v[241:242], s[12:13], v[193:194]
	v_add_f64_e32 v[12:13], v[136:137], v[12:13]
	v_add_f64_e64 v[138:139], v[138:139], -v[143:144]
	v_mul_f64_e32 v[143:144], s[24:25], v[187:188]
	v_mul_f64_e32 v[136:137], s[24:25], v[191:192]
	v_add_f64_e32 v[14:15], v[34:35], v[14:15]
	v_mul_f64_e32 v[34:35], s[18:19], v[207:208]
	v_add_f64_e32 v[12:13], v[138:139], v[12:13]
	scratch_load_b64 v[138:139], off, off offset:236 th:TH_LOAD_LU ; 8-byte Folded Reload
	v_add_f64_e32 v[34:35], v[155:156], v[34:35]
	v_mul_f64_e32 v[155:156], s[22:23], v[239:240]
	s_wait_loadcnt 0x1
	v_add_f64_e64 v[143:144], v[143:144], -v[145:146]
	v_mul_f64_e32 v[145:146], s[10:11], v[211:212]
	s_delay_alu instid0(VALU_DEP_2)
	v_add_f64_e32 v[16:17], v[143:144], v[16:17]
	scratch_load_b64 v[143:144], off, off offset:252 th:TH_LOAD_LU ; 8-byte Folded Reload
	v_add_f64_e32 v[145:146], v[153:154], v[145:146]
	v_mul_f64_e32 v[153:154], s[16:17], v[211:212]
	s_wait_loadcnt 0x1
	v_add_f64_e32 v[136:137], v[138:139], v[136:137]
	v_mul_f64_e32 v[138:139], s[18:19], v[195:196]
	s_delay_alu instid0(VALU_DEP_2) | instskip(NEXT) | instid1(VALU_DEP_2)
	v_add_f64_e32 v[18:19], v[136:137], v[18:19]
	v_add_f64_e64 v[138:139], v[138:139], -v[149:150]
	scratch_load_b64 v[149:150], off, off offset:244 th:TH_LOAD_LU ; 8-byte Folded Reload
	v_mul_f64_e32 v[136:137], s[0:1], v[215:216]
	v_add_f64_e32 v[18:19], v[34:35], v[18:19]
	v_add_f64_e32 v[16:17], v[138:139], v[16:17]
	v_mul_f64_e32 v[34:35], s[20:21], v[231:232]
	v_mul_f64_e32 v[138:139], s[20:21], v[223:224]
	s_delay_alu instid0(VALU_DEP_4) | instskip(NEXT) | instid1(VALU_DEP_3)
	v_add_f64_e32 v[18:19], v[145:146], v[18:19]
	v_add_f64_e32 v[34:35], v[151:152], v[34:35]
	s_delay_alu instid0(VALU_DEP_3)
	v_add_f64_e64 v[138:139], v[138:139], -v[217:218]
	v_mul_f64_e32 v[151:152], s[38:39], v[221:222]
	s_wait_loadcnt 0x1
	v_add_f64_e64 v[136:137], v[136:137], -v[143:144]
	s_wait_loadcnt 0x0
	v_add_f64_e64 v[147:148], v[147:148], -v[149:150]
	v_mul_f64_e32 v[149:150], s[0:1], v[227:228]
	s_delay_alu instid0(VALU_DEP_2) | instskip(NEXT) | instid1(VALU_DEP_2)
	v_add_f64_e32 v[16:17], v[147:148], v[16:17]
	v_add_f64_e32 v[149:150], v[157:158], v[149:150]
	v_mul_f64_e32 v[147:148], s[34:35], v[199:200]
	v_mul_f64_e32 v[157:158], s[24:25], v[227:228]
	s_delay_alu instid0(VALU_DEP_4) | instskip(NEXT) | instid1(VALU_DEP_4)
	v_add_f64_e32 v[16:17], v[136:137], v[16:17]
	v_add_f64_e32 v[18:19], v[149:150], v[18:19]
	v_mul_f64_e32 v[149:150], s[10:11], v[207:208]
	s_delay_alu instid0(VALU_DEP_3) | instskip(NEXT) | instid1(VALU_DEP_3)
	v_add_f64_e32 v[16:17], v[138:139], v[16:17]
	v_add_f64_e32 v[18:19], v[34:35], v[18:19]
	v_mul_f64_e32 v[34:35], s[20:21], v[191:192]
	v_fma_f64 v[138:139], v[187:188], s[20:21], -v[147:148]
	s_delay_alu instid0(VALU_DEP_2) | instskip(NEXT) | instid1(VALU_DEP_2)
	v_fma_f64 v[136:137], v[201:202], s[34:35], v[34:35]
	v_add_f64_e32 v[26:27], v[138:139], v[26:27]
	v_fma_f64 v[138:139], v[219:220], s[38:39], v[149:150]
	s_delay_alu instid0(VALU_DEP_3) | instskip(SKIP_1) | instid1(VALU_DEP_2)
	v_add_f64_e32 v[136:137], v[136:137], v[164:165]
	v_mul_f64_e32 v[164:165], s[42:43], v[247:248]
	v_add_f64_e32 v[136:137], v[138:139], v[136:137]
	v_fma_f64 v[138:139], v[195:196], s[10:11], -v[151:152]
	s_delay_alu instid0(VALU_DEP_1) | instskip(SKIP_1) | instid1(VALU_DEP_1)
	v_add_f64_e32 v[26:27], v[138:139], v[26:27]
	v_fma_f64 v[138:139], v[235:236], s[22:23], v[153:154]
	v_add_f64_e32 v[136:137], v[138:139], v[136:137]
	v_fma_f64 v[138:139], v[203:204], s[16:17], -v[155:156]
	s_delay_alu instid0(VALU_DEP_1) | instskip(SKIP_1) | instid1(VALU_DEP_1)
	v_add_f64_e32 v[26:27], v[138:139], v[26:27]
	v_fma_f64 v[138:139], v[237:238], s[42:43], v[157:158]
	;; [unrolled: 5-line block ×3, first 2 shown]
	v_add_f64_e32 v[138:139], v[138:139], v[136:137]
	v_fma_f64 v[136:137], v[223:224], s[0:1], -v[189:190]
	s_delay_alu instid0(VALU_DEP_1)
	v_add_f64_e32 v[136:137], v[136:137], v[26:27]
	scratch_load_b64 v[26:27], off, off offset:372 th:TH_LOAD_LU ; 8-byte Folded Reload
	s_wait_loadcnt 0x0
	v_add_f64_e32 v[22:23], v[22:23], v[26:27]
	v_fma_f64 v[26:27], v[223:224], s[18:19], -v[32:33]
	scratch_load_b64 v[32:33], off, off offset:356 th:TH_LOAD_LU ; 8-byte Folded Reload
	v_add_f64_e32 v[22:23], v[24:25], v[22:23]
	v_fma_f64 v[24:25], v[235:236], s[42:43], v[162:163]
	s_delay_alu instid0(VALU_DEP_1) | instskip(SKIP_1) | instid1(VALU_DEP_1)
	v_add_f64_e32 v[20:21], v[24:25], v[20:21]
	v_fma_f64 v[24:25], v[203:204], s[24:25], -v[166:167]
	v_add_f64_e32 v[22:23], v[24:25], v[22:23]
	v_fma_f64 v[24:25], v[237:238], s[38:39], v[168:169]
	s_delay_alu instid0(VALU_DEP_1) | instskip(SKIP_1) | instid1(VALU_DEP_1)
	v_add_f64_e32 v[20:21], v[24:25], v[20:21]
	v_fma_f64 v[24:25], v[215:216], s[10:11], -v[243:244]
	v_add_f64_e32 v[22:23], v[24:25], v[22:23]
	v_fma_f64 v[24:25], v[241:242], s[26:27], v[245:246]
	s_delay_alu instid0(VALU_DEP_2) | instskip(NEXT) | instid1(VALU_DEP_2)
	v_add_f64_e32 v[143:144], v[26:27], v[22:23]
	v_add_f64_e32 v[145:146], v[24:25], v[20:21]
	v_fma_f64 v[20:21], v[201:202], s[28:29], v[34:35]
	v_fma_f64 v[22:23], v[219:220], s[14:15], v[149:150]
	;; [unrolled: 1-line block ×4, first 2 shown]
	s_delay_alu instid0(VALU_DEP_4) | instskip(SKIP_1) | instid1(VALU_DEP_2)
	v_add_f64_e32 v[20:21], v[20:21], v[30:31]
	v_fma_f64 v[30:31], v[187:188], s[20:21], v[147:148]
	v_add_f64_e32 v[20:21], v[22:23], v[20:21]
	v_fma_f64 v[22:23], v[195:196], s[10:11], v[151:152]
	s_delay_alu instid0(VALU_DEP_2) | instskip(SKIP_1) | instid1(VALU_DEP_2)
	v_add_f64_e32 v[20:21], v[24:25], v[20:21]
	v_fma_f64 v[24:25], v[203:204], s[16:17], v[155:156]
	v_add_f64_e32 v[20:21], v[26:27], v[20:21]
	v_mul_f64_e32 v[26:27], s[16:17], v[195:196]
	s_delay_alu instid0(VALU_DEP_2)
	v_add_f64_e32 v[149:150], v[28:29], v[20:21]
	scratch_load_b64 v[28:29], off, off offset:340 th:TH_LOAD_LU ; 8-byte Folded Reload
	v_mul_f64_e32 v[20:21], s[0:1], v[191:192]
	s_wait_loadcnt 0x1
	v_add_f64_e32 v[30:31], v[30:31], v[32:33]
	v_add_f64_e64 v[26:27], v[26:27], -v[213:214]
	s_delay_alu instid0(VALU_DEP_3) | instskip(NEXT) | instid1(VALU_DEP_3)
	v_add_f64_e32 v[20:21], v[209:210], v[20:21]
	v_add_f64_e32 v[22:23], v[22:23], v[30:31]
	v_mul_f64_e32 v[30:31], s[18:19], v[203:204]
	s_delay_alu instid0(VALU_DEP_2) | instskip(SKIP_1) | instid1(VALU_DEP_3)
	v_add_f64_e32 v[22:23], v[24:25], v[22:23]
	v_fma_f64 v[24:25], v[215:216], s[24:25], v[164:165]
	v_add_f64_e64 v[30:31], v[30:31], -v[251:252]
	s_delay_alu instid0(VALU_DEP_2) | instskip(SKIP_1) | instid1(VALU_DEP_1)
	v_add_f64_e32 v[22:23], v[24:25], v[22:23]
	v_fma_f64 v[24:25], v[223:224], s[0:1], v[189:190]
	v_add_f64_e32 v[147:148], v[24:25], v[22:23]
	v_mul_f64_e32 v[22:23], s[0:1], v[187:188]
	v_mul_f64_e32 v[24:25], s[16:17], v[207:208]
	s_delay_alu instid0(VALU_DEP_2) | instskip(NEXT) | instid1(VALU_DEP_2)
	v_add_f64_e64 v[22:23], v[22:23], -v[205:206]
	v_add_f64_e32 v[24:25], v[225:226], v[24:25]
	s_wait_loadcnt 0x0
	v_add_f64_e32 v[20:21], v[20:21], v[28:29]
	scratch_load_b64 v[28:29], off, off offset:348 th:TH_LOAD_LU ; 8-byte Folded Reload
	v_add_f64_e32 v[20:21], v[24:25], v[20:21]
	v_mul_f64_e32 v[24:25], s[20:21], v[227:228]
	s_wait_loadcnt 0x0
	v_add_f64_e32 v[22:23], v[22:23], v[28:29]
	v_mul_f64_e32 v[28:29], s[18:19], v[211:212]
	s_delay_alu instid0(VALU_DEP_2)
	v_add_f64_e32 v[22:23], v[26:27], v[22:23]
	scratch_load_b64 v[26:27], off, off offset:180 th:TH_LOAD_LU ; 8-byte Folded Reload
	v_add_f64_e32 v[28:29], v[229:230], v[28:29]
	v_add_f64_e32 v[22:23], v[30:31], v[22:23]
	s_clause 0x1
	scratch_load_b64 v[30:31], off, off offset:188 th:TH_LOAD_LU
	scratch_load_b64 v[32:33], off, off offset:172 th:TH_LOAD_LU
	v_add_f64_e32 v[20:21], v[28:29], v[20:21]
	v_mul_f64_e32 v[28:29], s[24:25], v[231:232]
	s_wait_loadcnt 0x2
	v_add_f64_e32 v[24:25], v[26:27], v[24:25]
	v_mul_f64_e32 v[26:27], s[20:21], v[215:216]
	s_wait_loadcnt 0x1
	s_delay_alu instid0(VALU_DEP_3) | instskip(NEXT) | instid1(VALU_DEP_2)
	v_add_f64_e32 v[28:29], v[30:31], v[28:29]
	v_add_f64_e64 v[26:27], v[26:27], -v[253:254]
	v_mul_f64_e32 v[30:31], s[24:25], v[223:224]
	v_add_f64_e32 v[20:21], v[24:25], v[20:21]
	s_delay_alu instid0(VALU_DEP_3) | instskip(SKIP_1) | instid1(VALU_DEP_3)
	v_add_f64_e32 v[22:23], v[26:27], v[22:23]
	s_wait_loadcnt 0x0
	v_add_f64_e64 v[30:31], v[30:31], -v[32:33]
	s_delay_alu instid0(VALU_DEP_3)
	v_add_f64_e32 v[153:154], v[28:29], v[20:21]
	scratch_load_b64 v[20:21], off, off offset:324 th:TH_LOAD_LU ; 8-byte Folded Reload
	v_add_f64_e32 v[151:152], v[30:31], v[22:23]
	s_clause 0x1
	scratch_load_b64 v[22:23], off, off offset:316 th:TH_LOAD_LU
	scratch_load_b64 v[24:25], off, off offset:332 th:TH_LOAD_LU
	s_wait_loadcnt 0x2
	v_add_f64_e32 v[20:21], v[20:21], v[36:37]
	s_wait_loadcnt 0x0
	v_add_f64_e32 v[22:23], v[24:25], v[22:23]
	scratch_load_b64 v[24:25], off, off offset:380 th:TH_LOAD_LU ; 8-byte Folded Reload
	v_add_f64_e32 v[20:21], v[20:21], v[38:39]
	v_add_f64_e32 v[22:23], v[22:23], v[170:171]
	s_delay_alu instid0(VALU_DEP_2) | instskip(NEXT) | instid1(VALU_DEP_1)
	v_add_f64_e32 v[20:21], v[20:21], v[174:175]
	v_add_f64_e32 v[20:21], v[20:21], v[172:173]
	s_delay_alu instid0(VALU_DEP_1) | instskip(NEXT) | instid1(VALU_DEP_1)
	v_add_f64_e32 v[20:21], v[20:21], v[182:183]
	v_add_f64_e32 v[20:21], v[20:21], v[184:185]
	s_delay_alu instid0(VALU_DEP_1) | instskip(SKIP_4) | instid1(VALU_DEP_1)
	v_add_f64_e32 v[20:21], v[20:21], v[141:142]
	s_wait_loadcnt 0x0
	v_add_f64_e32 v[22:23], v[22:23], v[24:25]
	scratch_load_b64 v[24:25], off, off offset:388 th:TH_LOAD_LU ; 8-byte Folded Reload
	v_add_f64_e32 v[22:23], v[22:23], v[176:177]
	v_add_f64_e32 v[22:23], v[22:23], v[178:179]
	s_delay_alu instid0(VALU_DEP_1) | instskip(SKIP_1) | instid1(VALU_DEP_1)
	v_add_f64_e32 v[22:23], v[22:23], v[233:234]
	s_wait_loadcnt 0x0
	v_add_f64_e32 v[22:23], v[22:23], v[24:25]
	scratch_load_b64 v[24:25], off, off offset:308 th:TH_LOAD_LU ; 8-byte Folded Reload
	s_wait_loadcnt 0x0
	v_add_f64_e32 v[20:21], v[20:21], v[24:25]
	scratch_load_b64 v[24:25], off, off offset:292 th:TH_LOAD_LU ; 8-byte Folded Reload
	;; [unrolled: 3-line block ×3, first 2 shown]
	v_add_f64_e32 v[22:23], v[22:23], v[160:161]
	s_wait_loadcnt 0x0
	v_add_f64_e32 v[20:21], v[20:21], v[24:25]
	scratch_load_b64 v[24:25], off, off offset:284 th:TH_LOAD_LU ; 8-byte Folded Reload
	s_wait_loadcnt 0x0
	v_add_f64_e32 v[20:21], v[20:21], v[24:25]
	scratch_load_b64 v[24:25], off, off offset:300 th:TH_LOAD_LU ; 8-byte Folded Reload
	;; [unrolled: 3-line block ×4, first 2 shown]
	s_wait_loadcnt 0x0
	v_add_f64_e32 v[155:156], v[22:23], v[20:21]
	ds_store_b128 v255, v[12:15] offset:3200
	ds_store_b128 v255, v[16:19] offset:4800
	;; [unrolled: 1-line block ×11, first 2 shown]
	ds_store_b128 v255, v[155:158]
	ds_store_b128 v255, v[124:127] offset:19200
.LBB0_5:
	s_or_b32 exec_lo, exec_lo, s33
	s_add_nc_u64 s[0:1], s[8:9], 0x5140
	global_wb scope:SCOPE_SE
	s_wait_storecnt_dscnt 0x0
	s_barrier_signal -1
	s_barrier_wait -1
	global_inv scope:SCOPE_SE
	s_clause 0x9
	global_load_b128 v[0:3], v[180:181], off offset:20800
	global_load_b128 v[4:7], v255, s[0:1] offset:2080
	global_load_b128 v[8:11], v255, s[0:1] offset:4160
	;; [unrolled: 1-line block ×9, first 2 shown]
	ds_load_b128 v[160:163], v255
	ds_load_b128 v[164:167], v255 offset:2080
	ds_load_b128 v[168:171], v255 offset:4160
	ds_load_b128 v[172:175], v255 offset:6240
	ds_load_b128 v[176:179], v255 offset:8320
	ds_load_b128 v[180:183], v255 offset:10400
	ds_load_b128 v[184:187], v255 offset:12480
	ds_load_b128 v[188:191], v255 offset:14560
	ds_load_b128 v[192:195], v255 offset:16640
	ds_load_b128 v[196:199], v255 offset:18720
	s_mov_b32 s10, 0x134454ff
	s_mov_b32 s11, 0xbfee6f0e
	;; [unrolled: 1-line block ×3, first 2 shown]
	s_wait_alu 0xfffe
	s_mov_b32 s0, s10
	s_mov_b32 s14, 0x4755a5e
	;; [unrolled: 1-line block ×4, first 2 shown]
	s_wait_alu 0xfffe
	s_mov_b32 s8, s14
	s_mov_b32 s12, 0x372fe950
	;; [unrolled: 1-line block ×5, first 2 shown]
	s_wait_alu 0xfffe
	s_mov_b32 s18, s12
	s_mov_b32 s17, 0x3fe9e377
	;; [unrolled: 1-line block ×4, first 2 shown]
	s_wait_loadcnt_dscnt 0x909
	v_mul_f64_e32 v[20:21], v[162:163], v[2:3]
	v_mul_f64_e32 v[2:3], v[160:161], v[2:3]
	s_wait_loadcnt_dscnt 0x808
	v_mul_f64_e32 v[22:23], v[166:167], v[6:7]
	v_mul_f64_e32 v[6:7], v[164:165], v[6:7]
	;; [unrolled: 3-line block ×10, first 2 shown]
	v_fma_f64 v[155:156], v[160:161], v[0:1], -v[20:21]
	v_fma_f64 v[157:158], v[162:163], v[0:1], v[2:3]
	v_fma_f64 v[0:1], v[164:165], v[4:5], -v[22:23]
	v_fma_f64 v[2:3], v[166:167], v[4:5], v[6:7]
	;; [unrolled: 2-line block ×10, first 2 shown]
	ds_store_b128 v255, v[155:158]
	ds_store_b128 v255, v[0:3] offset:2080
	ds_store_b128 v255, v[4:7] offset:4160
	;; [unrolled: 1-line block ×9, first 2 shown]
	global_wb scope:SCOPE_SE
	s_wait_dscnt 0x0
	s_barrier_signal -1
	s_barrier_wait -1
	global_inv scope:SCOPE_SE
	ds_load_b128 v[0:3], v255 offset:6240
	ds_load_b128 v[4:7], v255 offset:10400
	;; [unrolled: 1-line block ×9, first 2 shown]
	ds_load_b128 v[153:156], v255
	global_wb scope:SCOPE_SE
	s_wait_dscnt 0x0
	s_barrier_signal -1
	s_barrier_wait -1
	global_inv scope:SCOPE_SE
	v_add_f64_e64 v[164:165], v[0:1], -v[4:5]
	v_add_f64_e32 v[20:21], v[6:7], v[10:11]
	v_add_f64_e32 v[22:23], v[2:3], v[14:15]
	;; [unrolled: 1-line block ×4, first 2 shown]
	v_add_f64_e64 v[28:29], v[0:1], -v[12:13]
	v_add_f64_e64 v[30:31], v[4:5], -v[8:9]
	;; [unrolled: 1-line block ×3, first 2 shown]
	v_add_f64_e32 v[34:35], v[141:142], v[145:146]
	v_add_f64_e32 v[157:158], v[136:137], v[149:150]
	v_add_f64_e32 v[160:161], v[143:144], v[147:148]
	v_add_f64_e32 v[162:163], v[138:139], v[151:152]
	v_add_f64_e64 v[166:167], v[12:13], -v[8:9]
	v_add_f64_e64 v[168:169], v[2:3], -v[6:7]
	;; [unrolled: 1-line block ×6, first 2 shown]
	v_add_f64_e32 v[184:185], v[153:154], v[136:137]
	v_add_f64_e32 v[190:191], v[155:156], v[138:139]
	;; [unrolled: 1-line block ×3, first 2 shown]
	v_add_f64_e64 v[186:187], v[138:139], -v[151:152]
	v_add_f64_e64 v[188:189], v[143:144], -v[147:148]
	;; [unrolled: 1-line block ×4, first 2 shown]
	v_fma_f64 v[20:21], v[20:21], -0.5, v[18:19]
	v_fma_f64 v[22:23], v[22:23], -0.5, v[18:19]
	;; [unrolled: 1-line block ×4, first 2 shown]
	v_add_f64_e32 v[16:17], v[16:17], v[0:1]
	v_add_f64_e64 v[0:1], v[4:5], -v[0:1]
	v_fma_f64 v[18:19], v[34:35], -0.5, v[153:154]
	v_fma_f64 v[153:154], v[157:158], -0.5, v[153:154]
	;; [unrolled: 1-line block ×4, first 2 shown]
	v_add_f64_e32 v[160:161], v[164:165], v[166:167]
	v_add_f64_e64 v[34:35], v[141:142], -v[145:146]
	v_add_f64_e32 v[162:163], v[168:169], v[170:171]
	v_add_f64_e32 v[164:165], v[172:173], v[174:175]
	v_add_f64_e64 v[172:173], v[149:150], -v[145:146]
	v_add_f64_e64 v[174:175], v[145:146], -v[149:150]
	v_add_f64_e32 v[2:3], v[2:3], v[6:7]
	v_fma_f64 v[178:179], v[28:29], s[0:1], v[20:21]
	v_fma_f64 v[180:181], v[30:31], s[10:11], v[22:23]
	;; [unrolled: 1-line block ×8, first 2 shown]
	v_add_f64_e32 v[4:5], v[16:17], v[4:5]
	v_add_f64_e32 v[0:1], v[0:1], v[194:195]
	v_fma_f64 v[6:7], v[186:187], s[10:11], v[18:19]
	v_fma_f64 v[16:17], v[186:187], s[0:1], v[18:19]
	;; [unrolled: 1-line block ×4, first 2 shown]
	v_add_f64_e32 v[2:3], v[2:3], v[10:11]
	v_fma_f64 v[168:169], v[30:31], s[8:9], v[178:179]
	v_fma_f64 v[170:171], v[28:29], s[8:9], v[180:181]
	v_fma_f64 v[22:23], v[28:29], s[14:15], v[22:23]
	v_fma_f64 v[28:29], v[176:177], s[14:15], v[182:183]
	v_fma_f64 v[20:21], v[30:31], s[14:15], v[20:21]
	v_add_f64_e64 v[30:31], v[136:137], -v[141:142]
	v_add_f64_e64 v[136:137], v[141:142], -v[136:137]
	;; [unrolled: 1-line block ×4, first 2 shown]
	v_add_f64_e32 v[141:142], v[184:185], v[141:142]
	v_add_f64_e32 v[143:144], v[190:191], v[143:144]
	v_add_f64_e64 v[180:181], v[151:152], -v[147:148]
	v_fma_f64 v[184:185], v[192:193], s[0:1], v[157:158]
	v_fma_f64 v[166:167], v[32:33], s[14:15], v[166:167]
	;; [unrolled: 1-line block ×3, first 2 shown]
	v_add_f64_e64 v[182:183], v[147:148], -v[151:152]
	v_fma_f64 v[157:158], v[192:193], s[10:11], v[157:158]
	v_fma_f64 v[190:191], v[34:35], s[10:11], v[155:156]
	;; [unrolled: 1-line block ×4, first 2 shown]
	v_add_f64_e32 v[4:5], v[4:5], v[8:9]
	v_fma_f64 v[6:7], v[188:189], s[14:15], v[6:7]
	v_fma_f64 v[8:9], v[188:189], s[8:9], v[16:17]
	;; [unrolled: 1-line block ×9, first 2 shown]
	v_add_f64_e32 v[30:31], v[30:31], v[172:173]
	v_add_f64_e32 v[136:137], v[136:137], v[174:175]
	;; [unrolled: 1-line block ×5, first 2 shown]
	v_fma_f64 v[18:19], v[34:35], s[8:9], v[184:185]
	v_fma_f64 v[153:154], v[0:1], s[12:13], v[166:167]
	;; [unrolled: 1-line block ×3, first 2 shown]
	v_add_f64_e32 v[138:139], v[138:139], v[182:183]
	v_fma_f64 v[34:35], v[34:35], s[14:15], v[157:158]
	v_fma_f64 v[145:146], v[192:193], s[8:9], v[190:191]
	;; [unrolled: 1-line block ×4, first 2 shown]
	v_add_f64_e32 v[4:5], v[4:5], v[12:13]
	v_add_f64_e32 v[12:13], v[2:3], v[14:15]
	v_mul_f64_e32 v[26:27], s[14:15], v[32:33]
	v_mul_f64_e32 v[155:156], s[10:11], v[168:169]
	;; [unrolled: 1-line block ×5, first 2 shown]
	s_wait_alu 0xfffe
	v_mul_f64_e32 v[22:23], s[18:19], v[22:23]
	v_mul_f64_e32 v[160:161], s[14:15], v[20:21]
	;; [unrolled: 1-line block ×3, first 2 shown]
	v_fma_f64 v[168:169], v[136:137], s[12:13], v[16:17]
	v_add_f64_e32 v[141:142], v[141:142], v[149:150]
	v_add_f64_e32 v[143:144], v[143:144], v[151:152]
	v_fma_f64 v[149:150], v[30:31], s[12:13], v[6:7]
	v_fma_f64 v[170:171], v[162:163], s[12:13], v[18:19]
	;; [unrolled: 1-line block ×15, first 2 shown]
	v_add_f64_e32 v[0:1], v[141:142], v[4:5]
	v_add_f64_e32 v[2:3], v[143:144], v[12:13]
	v_add_f64_e64 v[6:7], v[143:144], -v[12:13]
	v_add_f64_e64 v[4:5], v[141:142], -v[4:5]
	v_add_f64_e32 v[8:9], v[149:150], v[26:27]
	v_add_f64_e32 v[12:13], v[151:152], v[28:29]
	;; [unrolled: 1-line block ×8, first 2 shown]
	v_add_f64_e64 v[141:142], v[149:150], -v[26:27]
	v_add_f64_e64 v[143:144], v[170:171], -v[32:33]
	;; [unrolled: 1-line block ×8, first 2 shown]
	ds_store_b128 v140, v[0:3]
	ds_store_b128 v140, v[8:11] offset:16
	ds_store_b128 v140, v[12:15] offset:32
	ds_store_b128 v140, v[16:19] offset:48
	ds_store_b128 v140, v[136:139] offset:64
	ds_store_b128 v140, v[4:7] offset:80
	ds_store_b128 v140, v[141:144] offset:96
	ds_store_b128 v140, v[145:148] offset:112
	ds_store_b128 v140, v[149:152] offset:128
	ds_store_b128 v140, v[153:156] offset:144
	global_wb scope:SCOPE_SE
	s_wait_dscnt 0x0
	s_barrier_signal -1
	s_barrier_wait -1
	global_inv scope:SCOPE_SE
	ds_load_b128 v[0:3], v255 offset:6240
	ds_load_b128 v[4:7], v255 offset:10400
	;; [unrolled: 1-line block ×9, first 2 shown]
	s_wait_dscnt 0x8
	v_mul_f64_e32 v[20:21], v[62:63], v[0:1]
	s_wait_dscnt 0x7
	v_mul_f64_e32 v[22:23], v[74:75], v[4:5]
	;; [unrolled: 2-line block ×5, first 2 shown]
	v_mul_f64_e32 v[30:31], v[62:63], v[2:3]
	v_mul_f64_e32 v[32:33], v[74:75], v[6:7]
	;; [unrolled: 1-line block ×5, first 2 shown]
	v_fma_f64 v[20:21], v[60:61], v[2:3], -v[20:21]
	v_fma_f64 v[6:7], v[72:73], v[6:7], -v[22:23]
	;; [unrolled: 1-line block ×4, first 2 shown]
	s_wait_dscnt 0x3
	v_mul_f64_e32 v[2:3], v[58:59], v[138:139]
	v_mul_f64_e32 v[22:23], v[58:59], v[136:137]
	s_wait_dscnt 0x2
	v_mul_f64_e32 v[24:25], v[54:55], v[142:143]
	v_mul_f64_e32 v[26:27], v[54:55], v[140:141]
	s_wait_dscnt 0x1
	v_mul_f64_e32 v[54:55], v[50:51], v[146:147]
	s_wait_dscnt 0x0
	v_mul_f64_e32 v[58:59], v[46:47], v[150:151]
	v_mul_f64_e32 v[50:51], v[50:51], v[144:145]
	;; [unrolled: 1-line block ×3, first 2 shown]
	v_fma_f64 v[30:31], v[60:61], v[0:1], v[30:31]
	v_fma_f64 v[4:5], v[72:73], v[4:5], v[32:33]
	;; [unrolled: 1-line block ×4, first 2 shown]
	v_fma_f64 v[18:19], v[40:41], v[18:19], -v[28:29]
	v_fma_f64 v[16:17], v[40:41], v[16:17], v[42:43]
	v_add_f64_e64 v[70:71], v[20:21], -v[6:7]
	v_add_f64_e32 v[0:1], v[6:7], v[10:11]
	v_add_f64_e32 v[28:29], v[20:21], v[14:15]
	v_fma_f64 v[32:33], v[56:57], v[136:137], v[2:3]
	v_fma_f64 v[22:23], v[56:57], v[138:139], -v[22:23]
	v_fma_f64 v[24:25], v[52:53], v[140:141], v[24:25]
	v_fma_f64 v[26:27], v[52:53], v[142:143], -v[26:27]
	v_fma_f64 v[34:35], v[48:49], v[144:145], v[54:55]
	v_fma_f64 v[52:53], v[44:45], v[148:149], v[58:59]
	v_fma_f64 v[48:49], v[48:49], v[146:147], -v[50:51]
	v_fma_f64 v[44:45], v[44:45], v[150:151], -v[46:47]
	v_add_f64_e64 v[68:69], v[20:21], -v[14:15]
	v_add_f64_e64 v[72:73], v[14:15], -v[10:11]
	v_add_f64_e32 v[40:41], v[4:5], v[8:9]
	v_add_f64_e32 v[42:43], v[30:31], v[12:13]
	v_add_f64_e64 v[46:47], v[30:31], -v[12:13]
	v_add_f64_e64 v[50:51], v[4:5], -v[8:9]
	;; [unrolled: 1-line block ×8, first 2 shown]
	v_fma_f64 v[54:55], v[0:1], -0.5, v[18:19]
	v_fma_f64 v[28:29], v[28:29], -0.5, v[18:19]
	ds_load_b128 v[0:3], v255
	v_add_f64_e32 v[18:19], v[18:19], v[20:21]
	global_wb scope:SCOPE_SE
	s_wait_dscnt 0x0
	v_add_f64_e64 v[154:155], v[22:23], -v[26:27]
	v_add_f64_e32 v[56:57], v[24:25], v[34:35]
	v_add_f64_e32 v[58:59], v[32:33], v[52:53]
	;; [unrolled: 1-line block ×4, first 2 shown]
	v_add_f64_e64 v[142:143], v[22:23], -v[44:45]
	v_add_f64_e64 v[144:145], v[26:27], -v[48:49]
	v_fma_f64 v[40:41], v[40:41], -0.5, v[16:17]
	v_fma_f64 v[42:43], v[42:43], -0.5, v[16:17]
	v_add_f64_e32 v[16:17], v[16:17], v[30:31]
	v_add_f64_e64 v[30:31], v[4:5], -v[30:31]
	v_add_f64_e64 v[156:157], v[44:45], -v[48:49]
	;; [unrolled: 1-line block ×3, first 2 shown]
	s_barrier_signal -1
	s_barrier_wait -1
	global_inv scope:SCOPE_SE
	v_add_f64_e32 v[140:141], v[0:1], v[32:33]
	v_add_f64_e32 v[146:147], v[2:3], v[22:23]
	v_add_f64_e64 v[22:23], v[26:27], -v[22:23]
	v_fma_f64 v[136:137], v[46:47], s[0:1], v[54:55]
	v_fma_f64 v[138:139], v[50:51], s[10:11], v[28:29]
	;; [unrolled: 1-line block ×4, first 2 shown]
	v_add_f64_e32 v[6:7], v[18:19], v[6:7]
	v_fma_f64 v[20:21], v[56:57], -0.5, v[0:1]
	v_add_f64_e64 v[56:57], v[32:33], -v[52:53]
	v_fma_f64 v[0:1], v[58:59], -0.5, v[0:1]
	v_add_f64_e64 v[58:59], v[24:25], -v[34:35]
	v_fma_f64 v[60:61], v[60:61], -0.5, v[2:3]
	v_fma_f64 v[2:3], v[62:63], -0.5, v[2:3]
	v_add_f64_e32 v[62:63], v[70:71], v[72:73]
	v_add_f64_e32 v[70:71], v[74:75], v[76:77]
	v_fma_f64 v[72:73], v[68:69], s[10:11], v[40:41]
	v_fma_f64 v[40:41], v[68:69], s[0:1], v[40:41]
	;; [unrolled: 1-line block ×4, first 2 shown]
	v_add_f64_e32 v[4:5], v[16:17], v[4:5]
	v_add_f64_e32 v[16:17], v[148:149], v[150:151]
	v_add_f64_e32 v[30:31], v[30:31], v[152:153]
	v_add_f64_e32 v[26:27], v[146:147], v[26:27]
	v_add_f64_e32 v[22:23], v[22:23], v[160:161]
	v_fma_f64 v[76:77], v[50:51], s[8:9], v[136:137]
	v_fma_f64 v[136:137], v[46:47], s[8:9], v[138:139]
	;; [unrolled: 1-line block ×4, first 2 shown]
	v_add_f64_e64 v[50:51], v[32:33], -v[24:25]
	v_add_f64_e64 v[54:55], v[52:53], -v[34:35]
	;; [unrolled: 1-line block ×4, first 2 shown]
	v_add_f64_e32 v[24:25], v[140:141], v[24:25]
	v_fma_f64 v[18:19], v[142:143], s[10:11], v[20:21]
	v_fma_f64 v[20:21], v[142:143], s[0:1], v[20:21]
	;; [unrolled: 1-line block ×12, first 2 shown]
	v_add_f64_e32 v[4:5], v[4:5], v[8:9]
	v_add_f64_e32 v[6:7], v[6:7], v[10:11]
	;; [unrolled: 1-line block ×3, first 2 shown]
	v_fma_f64 v[68:69], v[62:63], s[12:13], v[76:77]
	v_fma_f64 v[76:77], v[70:71], s[12:13], v[136:137]
	;; [unrolled: 1-line block ×4, first 2 shown]
	v_add_f64_e32 v[50:51], v[50:51], v[54:55]
	v_add_f64_e32 v[54:55], v[154:155], v[156:157]
	v_add_f64_e32 v[32:33], v[32:33], v[138:139]
	v_add_f64_e32 v[24:25], v[24:25], v[34:35]
	v_fma_f64 v[8:9], v[144:145], s[14:15], v[18:19]
	v_fma_f64 v[10:11], v[144:145], s[8:9], v[20:21]
	;; [unrolled: 1-line block ×12, first 2 shown]
	v_add_f64_e32 v[4:5], v[4:5], v[12:13]
	v_add_f64_e32 v[6:7], v[6:7], v[14:15]
	;; [unrolled: 1-line block ×3, first 2 shown]
	v_mul_f64_e32 v[42:43], s[14:15], v[68:69]
	v_mul_f64_e32 v[58:59], s[10:11], v[76:77]
	;; [unrolled: 1-line block ×8, first 2 shown]
	v_add_f64_e32 v[24:25], v[24:25], v[52:53]
	v_fma_f64 v[8:9], v[50:51], s[12:13], v[8:9]
	v_fma_f64 v[10:11], v[50:51], s[12:13], v[10:11]
	v_fma_f64 v[12:13], v[32:33], s[12:13], v[18:19]
	v_fma_f64 v[0:1], v[32:33], s[12:13], v[0:1]
	v_fma_f64 v[14:15], v[54:55], s[12:13], v[20:21]
	v_fma_f64 v[18:19], v[54:55], s[12:13], v[34:35]
	v_fma_f64 v[20:21], v[22:23], s[12:13], v[48:49]
	v_fma_f64 v[2:3], v[22:23], s[12:13], v[2:3]
	v_fma_f64 v[22:23], v[56:57], s[16:17], v[42:43]
	v_fma_f64 v[32:33], v[40:41], s[12:13], v[58:59]
	v_fma_f64 v[34:35], v[30:31], s[18:19], v[60:61]
	v_fma_f64 v[74:75], v[16:17], s[20:21], v[62:63]
	v_fma_f64 v[78:79], v[56:57], s[8:9], v[68:69]
	v_fma_f64 v[70:71], v[40:41], s[0:1], v[70:71]
	v_fma_f64 v[28:29], v[30:31], s[0:1], v[28:29]
	v_fma_f64 v[16:17], v[16:17], s[8:9], v[46:47]
	v_add_f64_e32 v[40:41], v[24:25], v[4:5]
	v_add_f64_e32 v[42:43], v[26:27], v[6:7]
	v_add_f64_e64 v[60:61], v[24:25], -v[4:5]
	v_add_f64_e64 v[62:63], v[26:27], -v[6:7]
	v_add_f64_e32 v[48:49], v[8:9], v[22:23]
	v_add_f64_e32 v[44:45], v[12:13], v[32:33]
	;; [unrolled: 1-line block ×8, first 2 shown]
	v_add_f64_e64 v[72:73], v[8:9], -v[22:23]
	v_add_f64_e64 v[136:137], v[12:13], -v[32:33]
	v_add_f64_e64 v[68:69], v[0:1], -v[34:35]
	v_add_f64_e64 v[76:77], v[10:11], -v[74:75]
	v_add_f64_e64 v[74:75], v[14:15], -v[78:79]
	v_add_f64_e64 v[138:139], v[20:21], -v[70:71]
	v_add_f64_e64 v[70:71], v[2:3], -v[28:29]
	v_add_f64_e64 v[78:79], v[18:19], -v[16:17]
	ds_store_b128 v159, v[40:43]
	ds_store_b128 v159, v[48:51] offset:160
	ds_store_b128 v159, v[44:47] offset:320
	ds_store_b128 v159, v[52:55] offset:480
	ds_store_b128 v159, v[56:59] offset:640
	ds_store_b128 v159, v[60:63] offset:800
	ds_store_b128 v159, v[72:75] offset:960
	ds_store_b128 v159, v[136:139] offset:1120
	ds_store_b128 v159, v[68:71] offset:1280
	ds_store_b128 v159, v[76:79] offset:1440
	global_wb scope:SCOPE_SE
	s_wait_dscnt 0x0
	s_barrier_signal -1
	s_barrier_wait -1
	global_inv scope:SCOPE_SE
	s_and_saveexec_b32 s0, vcc_lo
	s_cbranch_execz .LBB0_7
; %bb.6:
	ds_load_b128 v[40:43], v255
	ds_load_b128 v[48:51], v255 offset:1600
	ds_load_b128 v[44:47], v255 offset:3200
	;; [unrolled: 1-line block ×12, first 2 shown]
.LBB0_7:
	s_wait_alu 0xfffe
	s_or_b32 exec_lo, exec_lo, s0
	s_and_saveexec_b32 s33, vcc_lo
	s_cbranch_execz .LBB0_9
; %bb.8:
	s_wait_dscnt 0x6
	v_mul_f64_e32 v[0:1], v[118:119], v[74:75]
	s_mov_b32 s35, 0x3fddbe06
	s_mov_b32 s34, 0x4267c47c
	;; [unrolled: 1-line block ×14, first 2 shown]
	s_wait_alu 0xfffe
	s_mov_b32 s30, s26
	s_mov_b32 s28, s24
	;; [unrolled: 1-line block ×16, first 2 shown]
	s_delay_alu instid0(VALU_DEP_1) | instskip(SKIP_1) | instid1(VALU_DEP_1)
	v_fma_f64 v[141:142], v[116:117], v[72:73], v[0:1]
	v_mul_f64_e32 v[0:1], v[118:119], v[72:73]
	v_fma_f64 v[74:75], v[116:117], v[74:75], -v[0:1]
	s_wait_dscnt 0x5
	v_mul_f64_e32 v[0:1], v[122:123], v[138:139]
	s_delay_alu instid0(VALU_DEP_1) | instskip(SKIP_1) | instid1(VALU_DEP_2)
	v_fma_f64 v[72:73], v[120:121], v[136:137], v[0:1]
	v_mul_f64_e32 v[0:1], v[122:123], v[136:137]
	v_add_f64_e32 v[175:176], v[141:142], v[72:73]
	s_delay_alu instid0(VALU_DEP_2) | instskip(SKIP_1) | instid1(VALU_DEP_2)
	v_fma_f64 v[116:117], v[120:121], v[138:139], -v[0:1]
	v_mul_f64_e32 v[0:1], v[110:111], v[62:63]
	v_add_f64_e32 v[171:172], v[74:75], v[116:117]
	s_delay_alu instid0(VALU_DEP_2) | instskip(SKIP_1) | instid1(VALU_DEP_1)
	v_fma_f64 v[118:119], v[108:109], v[60:61], v[0:1]
	v_mul_f64_e32 v[0:1], v[110:111], v[60:61]
	v_fma_f64 v[60:61], v[108:109], v[62:63], -v[0:1]
	v_mul_f64_e32 v[0:1], v[66:67], v[50:51]
	s_delay_alu instid0(VALU_DEP_1) | instskip(SKIP_1) | instid1(VALU_DEP_2)
	v_fma_f64 v[108:109], v[64:65], v[48:49], v[0:1]
	v_mul_f64_e32 v[0:1], v[66:67], v[48:49]
	v_add_f64_e32 v[147:148], v[40:41], v[108:109]
	s_delay_alu instid0(VALU_DEP_2) | instskip(SKIP_2) | instid1(VALU_DEP_1)
	v_fma_f64 v[110:111], v[64:65], v[50:51], -v[0:1]
	s_wait_dscnt 0x4
	v_mul_f64_e32 v[0:1], v[114:115], v[70:71]
	v_fma_f64 v[48:49], v[112:113], v[68:69], v[0:1]
	v_mul_f64_e32 v[0:1], v[114:115], v[68:69]
	s_delay_alu instid0(VALU_DEP_1) | instskip(SKIP_1) | instid1(VALU_DEP_2)
	v_fma_f64 v[50:51], v[112:113], v[70:71], -v[0:1]
	v_mul_f64_e32 v[0:1], v[102:103], v[58:59]
	v_add_f64_e32 v[163:164], v[60:61], v[50:51]
	s_delay_alu instid0(VALU_DEP_2) | instskip(SKIP_1) | instid1(VALU_DEP_1)
	v_fma_f64 v[62:63], v[100:101], v[56:57], v[0:1]
	v_mul_f64_e32 v[0:1], v[102:103], v[56:57]
	v_fma_f64 v[64:65], v[100:101], v[58:59], -v[0:1]
	s_wait_dscnt 0x3
	v_mul_f64_e32 v[0:1], v[106:107], v[78:79]
	s_delay_alu instid0(VALU_DEP_1) | instskip(SKIP_1) | instid1(VALU_DEP_2)
	v_fma_f64 v[56:57], v[104:105], v[76:77], v[0:1]
	v_mul_f64_e32 v[0:1], v[106:107], v[76:77]
	v_add_f64_e32 v[161:162], v[62:63], v[56:57]
	s_delay_alu instid0(VALU_DEP_2) | instskip(SKIP_1) | instid1(VALU_DEP_2)
	v_fma_f64 v[58:59], v[104:105], v[78:79], -v[0:1]
	v_mul_f64_e32 v[0:1], v[94:95], v[54:55]
	v_add_f64_e32 v[159:160], v[64:65], v[58:59]
	s_delay_alu instid0(VALU_DEP_2) | instskip(SKIP_1) | instid1(VALU_DEP_1)
	v_fma_f64 v[68:69], v[92:93], v[52:53], v[0:1]
	v_mul_f64_e32 v[0:1], v[94:95], v[52:53]
	v_fma_f64 v[76:77], v[92:93], v[54:55], -v[0:1]
	s_wait_dscnt 0x2
	v_mul_f64_e32 v[0:1], v[98:99], v[134:135]
	v_add_f64_e64 v[92:93], v[62:63], -v[56:57]
	s_delay_alu instid0(VALU_DEP_2) | instskip(SKIP_1) | instid1(VALU_DEP_3)
	v_fma_f64 v[52:53], v[96:97], v[132:133], v[0:1]
	v_mul_f64_e32 v[0:1], v[98:99], v[132:133]
	v_mul_f64_e32 v[6:7], s[34:35], v[92:93]
	s_wait_alu 0xfffe
	v_mul_f64_e32 v[183:184], s[36:37], v[92:93]
	s_delay_alu instid0(VALU_DEP_4) | instskip(NEXT) | instid1(VALU_DEP_4)
	v_add_f64_e32 v[157:158], v[68:69], v[52:53]
	v_fma_f64 v[54:55], v[96:97], v[134:135], -v[0:1]
	v_mul_f64_e32 v[0:1], v[86:87], v[46:47]
	v_add_f64_e64 v[96:97], v[68:69], -v[52:53]
	s_delay_alu instid0(VALU_DEP_3) | instskip(NEXT) | instid1(VALU_DEP_3)
	v_add_f64_e64 v[94:95], v[76:77], -v[54:55]
	v_fma_f64 v[78:79], v[84:85], v[44:45], v[0:1]
	v_mul_f64_e32 v[0:1], v[86:87], v[44:45]
	v_add_f64_e64 v[86:87], v[118:119], -v[48:49]
	v_mul_f64_e32 v[10:11], s[34:35], v[96:97]
	v_add_f64_e32 v[155:156], v[76:77], v[54:55]
	v_mul_f64_e32 v[179:180], s[18:19], v[96:97]
	v_mul_f64_e32 v[100:101], s[34:35], v[94:95]
	;; [unrolled: 1-line block ×3, first 2 shown]
	v_fma_f64 v[84:85], v[84:85], v[46:47], -v[0:1]
	s_wait_dscnt 0x1
	v_mul_f64_e32 v[0:1], v[90:91], v[130:131]
	v_mul_f64_e32 v[20:21], s[34:35], v[86:87]
	;; [unrolled: 1-line block ×4, first 2 shown]
	s_delay_alu instid0(VALU_DEP_4) | instskip(SKIP_2) | instid1(VALU_DEP_2)
	v_fma_f64 v[44:45], v[88:89], v[128:129], v[0:1]
	v_mul_f64_e32 v[0:1], v[90:91], v[128:129]
	v_add_f64_e64 v[90:91], v[64:65], -v[58:59]
	v_fma_f64 v[66:67], v[88:89], v[130:131], -v[0:1]
	s_wait_dscnt 0x0
	v_mul_f64_e32 v[0:1], v[82:83], v[126:127]
	v_add_f64_e64 v[88:89], v[74:75], -v[116:117]
	s_delay_alu instid0(VALU_DEP_4)
	v_mul_f64_e32 v[8:9], s[34:35], v[90:91]
	v_mul_f64_e32 v[185:186], s[36:37], v[90:91]
	v_add_f64_e64 v[98:99], v[84:85], -v[66:67]
	v_fma_f64 v[46:47], v[80:81], v[124:125], v[0:1]
	v_mul_f64_e32 v[0:1], v[82:83], v[124:125]
	v_add_f64_e64 v[82:83], v[141:142], -v[72:73]
	v_mul_f64_e32 v[4:5], s[34:35], v[88:89]
	v_add_f64_e32 v[153:154], v[84:85], v[66:67]
	v_mul_f64_e32 v[177:178], s[24:25], v[88:89]
	v_mul_f64_e32 v[18:19], s[34:35], v[98:99]
	v_add_f64_e64 v[12:13], v[108:109], -v[46:47]
	v_fma_f64 v[70:71], v[80:81], v[126:127], -v[0:1]
	v_add_f64_e64 v[0:1], v[78:79], -v[44:45]
	v_add_f64_e64 v[80:81], v[60:61], -v[50:51]
	v_mul_f64_e32 v[2:3], s[34:35], v[82:83]
	v_add_f64_e32 v[130:131], v[108:109], v[46:47]
	v_mul_f64_e32 v[173:174], s[24:25], v[82:83]
	v_mul_f64_e32 v[191:192], s[18:19], v[98:99]
	;; [unrolled: 1-line block ×7, first 2 shown]
	s_mov_b32 s35, 0xbfddbe06
	v_mul_f64_e32 v[26:27], s[20:21], v[12:13]
	v_mul_f64_e32 v[28:29], s[28:29], v[12:13]
	;; [unrolled: 1-line block ×3, first 2 shown]
	s_wait_alu 0xfffe
	v_mul_f64_e32 v[12:13], s[34:35], v[12:13]
	v_add_f64_e32 v[32:33], v[110:111], v[70:71]
	v_mul_f64_e32 v[167:168], s[20:21], v[80:81]
	v_mul_f64_e32 v[189:190], s[24:25], v[80:81]
	;; [unrolled: 1-line block ×3, first 2 shown]
	s_delay_alu instid0(VALU_DEP_4)
	v_fma_f64 v[34:35], v[32:33], s[14:15], v[14:15]
	v_fma_f64 v[14:15], v[32:33], s[14:15], -v[14:15]
	v_fma_f64 v[102:103], v[32:33], s[8:9], v[24:25]
	v_fma_f64 v[24:25], v[32:33], s[8:9], -v[24:25]
	;; [unrolled: 2-line block ×6, first 2 shown]
	v_add_f64_e64 v[32:33], v[110:111], -v[70:71]
	v_add_f64_e32 v[34:35], v[42:43], v[34:35]
	v_add_f64_e32 v[102:103], v[42:43], v[102:103]
	;; [unrolled: 1-line block ×9, first 2 shown]
	v_mul_f64_e32 v[120:121], s[18:19], v[32:33]
	v_mul_f64_e32 v[122:123], s[16:17], v[32:33]
	;; [unrolled: 1-line block ×6, first 2 shown]
	s_mov_b32 s35, 0x3fcea1e5
	s_mov_b32 s34, s18
	v_fma_f64 v[132:133], v[130:131], s[14:15], -v[120:121]
	v_fma_f64 v[120:121], v[130:131], s[14:15], v[120:121]
	v_fma_f64 v[134:135], v[130:131], s[8:9], -v[122:123]
	v_fma_f64 v[122:123], v[130:131], s[8:9], v[122:123]
	;; [unrolled: 2-line block ×5, first 2 shown]
	v_fma_f64 v[145:146], v[130:131], s[22:23], v[32:33]
	v_fma_f64 v[32:33], v[130:131], s[22:23], -v[32:33]
	v_add_f64_e32 v[130:131], v[42:43], v[110:111]
	v_add_f64_e32 v[110:111], v[42:43], v[14:15]
	;; [unrolled: 1-line block ×15, first 2 shown]
	v_fma_f64 v[12:13], v[153:154], s[22:23], v[16:17]
	v_mul_f64_e32 v[40:41], s[16:17], v[96:97]
	v_add_f64_e32 v[134:135], v[42:43], v[104:105]
	v_fma_f64 v[16:17], v[153:154], s[22:23], -v[16:17]
	s_delay_alu instid0(VALU_DEP_4) | instskip(SKIP_2) | instid1(VALU_DEP_4)
	v_add_f64_e32 v[12:13], v[12:13], v[34:35]
	v_add_f64_e32 v[34:35], v[78:79], v[44:45]
	v_fma_f64 v[42:43], v[155:156], s[8:9], v[40:41]
	v_add_f64_e32 v[16:17], v[16:17], v[110:111]
	v_fma_f64 v[40:41], v[155:156], s[8:9], -v[40:41]
	s_delay_alu instid0(VALU_DEP_4) | instskip(NEXT) | instid1(VALU_DEP_4)
	v_fma_f64 v[14:15], v[34:35], s[22:23], -v[18:19]
	v_add_f64_e32 v[12:13], v[42:43], v[12:13]
	v_mul_f64_e32 v[42:43], s[16:17], v[94:95]
	v_fma_f64 v[18:19], v[34:35], s[22:23], v[18:19]
	v_add_f64_e32 v[16:17], v[40:41], v[16:17]
	v_add_f64_e32 v[14:15], v[14:15], v[108:109]
	s_delay_alu instid0(VALU_DEP_4) | instskip(NEXT) | instid1(VALU_DEP_4)
	v_fma_f64 v[104:105], v[157:158], s[8:9], -v[42:43]
	v_add_f64_e32 v[18:19], v[18:19], v[120:121]
	v_fma_f64 v[40:41], v[157:158], s[8:9], v[42:43]
	v_fma_f64 v[42:43], v[175:176], s[10:11], v[177:178]
	s_delay_alu instid0(VALU_DEP_4) | instskip(SKIP_1) | instid1(VALU_DEP_4)
	v_add_f64_e32 v[14:15], v[104:105], v[14:15]
	v_mul_f64_e32 v[104:105], s[26:27], v[92:93]
	v_add_f64_e32 v[18:19], v[40:41], v[18:19]
	s_delay_alu instid0(VALU_DEP_2) | instskip(SKIP_2) | instid1(VALU_DEP_3)
	v_fma_f64 v[106:107], v[159:160], s[12:13], v[104:105]
	v_fma_f64 v[40:41], v[159:160], s[12:13], -v[104:105]
	v_mul_f64_e32 v[104:105], s[24:25], v[0:1]
	v_add_f64_e32 v[12:13], v[106:107], v[12:13]
	v_mul_f64_e32 v[106:107], s[26:27], v[90:91]
	s_delay_alu instid0(VALU_DEP_4) | instskip(NEXT) | instid1(VALU_DEP_2)
	v_add_f64_e32 v[16:17], v[40:41], v[16:17]
	v_fma_f64 v[108:109], v[161:162], s[12:13], -v[106:107]
	v_fma_f64 v[40:41], v[161:162], s[12:13], v[106:107]
	v_mul_f64_e32 v[106:107], s[30:31], v[96:97]
	s_delay_alu instid0(VALU_DEP_3) | instskip(SKIP_1) | instid1(VALU_DEP_4)
	v_add_f64_e32 v[14:15], v[108:109], v[14:15]
	v_mul_f64_e32 v[108:109], s[20:21], v[86:87]
	v_add_f64_e32 v[18:19], v[40:41], v[18:19]
	s_delay_alu instid0(VALU_DEP_2) | instskip(SKIP_2) | instid1(VALU_DEP_3)
	v_fma_f64 v[165:166], v[163:164], s[0:1], v[108:109]
	v_fma_f64 v[40:41], v[163:164], s[0:1], -v[108:109]
	v_fma_f64 v[108:109], v[155:156], s[12:13], v[106:107]
	v_add_f64_e32 v[12:13], v[165:166], v[12:13]
	v_add_f64_e32 v[165:166], v[118:119], v[48:49]
	s_delay_alu instid0(VALU_DEP_4) | instskip(NEXT) | instid1(VALU_DEP_2)
	v_add_f64_e32 v[16:17], v[40:41], v[16:17]
	v_fma_f64 v[40:41], v[165:166], s[0:1], v[167:168]
	v_fma_f64 v[169:170], v[165:166], s[0:1], -v[167:168]
	v_mul_f64_e32 v[167:168], s[20:21], v[82:83]
	s_delay_alu instid0(VALU_DEP_3) | instskip(SKIP_1) | instid1(VALU_DEP_4)
	v_add_f64_e32 v[40:41], v[40:41], v[18:19]
	v_fma_f64 v[18:19], v[171:172], s[10:11], -v[173:174]
	v_add_f64_e32 v[169:170], v[169:170], v[14:15]
	v_fma_f64 v[14:15], v[171:172], s[10:11], v[173:174]
	v_mul_f64_e32 v[173:174], s[20:21], v[0:1]
	s_delay_alu instid0(VALU_DEP_4)
	v_add_f64_e32 v[18:19], v[18:19], v[16:17]
	v_add_f64_e32 v[16:17], v[42:43], v[40:41]
	v_fma_f64 v[40:41], v[153:154], s[10:11], v[104:105]
	v_fma_f64 v[104:105], v[153:154], s[10:11], -v[104:105]
	v_add_f64_e32 v[14:15], v[14:15], v[12:13]
	v_fma_f64 v[12:13], v[175:176], s[10:11], -v[177:178]
	v_mul_f64_e32 v[177:178], s[20:21], v[98:99]
	v_add_f64_e32 v[40:41], v[40:41], v[102:103]
	v_mul_f64_e32 v[102:103], s[24:25], v[98:99]
	v_add_f64_e32 v[24:25], v[104:105], v[24:25]
	v_fma_f64 v[104:105], v[155:156], s[12:13], -v[106:107]
	v_add_f64_e32 v[12:13], v[12:13], v[169:170]
	v_mul_f64_e32 v[169:170], s[20:21], v[88:89]
	s_mov_b32 s25, 0x3fedeba7
	s_mov_b32 s24, s20
	s_wait_alu 0xfffe
	v_mul_f64_e32 v[193:194], s[24:25], v[96:97]
	v_mul_f64_e32 v[195:196], s[24:25], v[94:95]
	v_add_f64_e32 v[40:41], v[108:109], v[40:41]
	v_fma_f64 v[42:43], v[34:35], s[10:11], -v[102:103]
	v_mul_f64_e32 v[108:109], s[30:31], v[94:95]
	v_fma_f64 v[102:103], v[34:35], s[10:11], v[102:103]
	v_add_f64_e32 v[24:25], v[104:105], v[24:25]
	s_delay_alu instid0(VALU_DEP_4) | instskip(NEXT) | instid1(VALU_DEP_4)
	v_add_f64_e32 v[42:43], v[42:43], v[132:133]
	v_fma_f64 v[110:111], v[157:158], s[12:13], -v[108:109]
	s_delay_alu instid0(VALU_DEP_4)
	v_add_f64_e32 v[102:103], v[102:103], v[122:123]
	v_fma_f64 v[104:105], v[157:158], s[12:13], v[108:109]
	v_fma_f64 v[108:109], v[155:156], s[22:23], v[10:11]
	v_fma_f64 v[122:123], v[155:156], s[0:1], -v[193:194]
	v_fma_f64 v[10:11], v[155:156], s[22:23], -v[10:11]
	v_add_f64_e32 v[42:43], v[110:111], v[42:43]
	v_mul_f64_e32 v[110:111], s[34:35], v[92:93]
	v_add_f64_e32 v[102:103], v[104:105], v[102:103]
	s_delay_alu instid0(VALU_DEP_2) | instskip(SKIP_1) | instid1(VALU_DEP_2)
	v_fma_f64 v[120:121], v[159:160], s[14:15], v[110:111]
	v_fma_f64 v[104:105], v[159:160], s[14:15], -v[110:111]
	v_add_f64_e32 v[40:41], v[120:121], v[40:41]
	v_mul_f64_e32 v[120:121], s[34:35], v[90:91]
	s_delay_alu instid0(VALU_DEP_3) | instskip(NEXT) | instid1(VALU_DEP_2)
	v_add_f64_e32 v[24:25], v[104:105], v[24:25]
	v_fma_f64 v[132:133], v[161:162], s[14:15], -v[120:121]
	v_fma_f64 v[104:105], v[161:162], s[14:15], v[120:121]
	s_delay_alu instid0(VALU_DEP_2) | instskip(SKIP_2) | instid1(VALU_DEP_4)
	v_add_f64_e32 v[42:43], v[132:133], v[42:43]
	v_fma_f64 v[132:133], v[163:164], s[22:23], v[20:21]
	v_fma_f64 v[20:21], v[163:164], s[22:23], -v[20:21]
	v_add_f64_e32 v[102:103], v[104:105], v[102:103]
	s_delay_alu instid0(VALU_DEP_3) | instskip(SKIP_1) | instid1(VALU_DEP_4)
	v_add_f64_e32 v[40:41], v[132:133], v[40:41]
	v_fma_f64 v[132:133], v[165:166], s[22:23], -v[22:23]
	v_add_f64_e32 v[20:21], v[20:21], v[24:25]
	v_fma_f64 v[22:23], v[165:166], s[22:23], v[22:23]
	v_fma_f64 v[24:25], v[171:172], s[0:1], -v[167:168]
	s_delay_alu instid0(VALU_DEP_4) | instskip(SKIP_1) | instid1(VALU_DEP_4)
	v_add_f64_e32 v[132:133], v[132:133], v[42:43]
	v_fma_f64 v[42:43], v[171:172], s[0:1], v[167:168]
	v_add_f64_e32 v[22:23], v[22:23], v[102:103]
	v_fma_f64 v[102:103], v[175:176], s[0:1], v[169:170]
	v_add_f64_e32 v[104:105], v[24:25], v[20:21]
	v_mul_f64_e32 v[20:21], s[36:37], v[0:1]
	v_mul_f64_e32 v[24:25], s[36:37], v[98:99]
	;; [unrolled: 1-line block ×3, first 2 shown]
	v_add_f64_e32 v[42:43], v[42:43], v[40:41]
	v_fma_f64 v[40:41], v[175:176], s[0:1], -v[169:170]
	v_add_f64_e32 v[102:103], v[102:103], v[22:23]
	v_mul_f64_e32 v[169:170], s[26:27], v[82:83]
	v_fma_f64 v[22:23], v[153:154], s[8:9], v[20:21]
	v_fma_f64 v[106:107], v[34:35], s[8:9], -v[24:25]
	v_fma_f64 v[20:21], v[153:154], s[8:9], -v[20:21]
	v_fma_f64 v[24:25], v[34:35], s[8:9], v[24:25]
	v_add_f64_e32 v[40:41], v[40:41], v[132:133]
	v_mul_f64_e32 v[132:133], s[28:29], v[92:93]
	v_add_f64_e32 v[22:23], v[22:23], v[134:135]
	v_add_f64_e32 v[106:107], v[106:107], v[136:137]
	v_mul_f64_e32 v[134:135], s[28:29], v[90:91]
	v_mul_f64_e32 v[136:137], s[34:35], v[86:87]
	v_add_f64_e32 v[20:21], v[20:21], v[26:27]
	v_add_f64_e32 v[24:25], v[24:25], v[124:125]
	v_mul_f64_e32 v[86:87], s[16:17], v[86:87]
	v_add_f64_e32 v[22:23], v[108:109], v[22:23]
	v_fma_f64 v[108:109], v[157:158], s[22:23], -v[100:101]
	v_add_f64_e32 v[10:11], v[10:11], v[20:21]
	v_fma_f64 v[20:21], v[157:158], s[22:23], v[100:101]
	s_delay_alu instid0(VALU_DEP_3) | instskip(SKIP_1) | instid1(VALU_DEP_3)
	v_add_f64_e32 v[106:107], v[108:109], v[106:107]
	v_fma_f64 v[108:109], v[159:160], s[10:11], v[132:133]
	v_add_f64_e32 v[20:21], v[20:21], v[24:25]
	v_fma_f64 v[24:25], v[159:160], s[10:11], -v[132:133]
	s_delay_alu instid0(VALU_DEP_3) | instskip(SKIP_1) | instid1(VALU_DEP_3)
	v_add_f64_e32 v[22:23], v[108:109], v[22:23]
	v_fma_f64 v[108:109], v[161:162], s[10:11], -v[134:135]
	v_add_f64_e32 v[10:11], v[24:25], v[10:11]
	v_fma_f64 v[24:25], v[161:162], s[10:11], v[134:135]
	s_delay_alu instid0(VALU_DEP_3) | instskip(SKIP_1) | instid1(VALU_DEP_3)
	v_add_f64_e32 v[106:107], v[108:109], v[106:107]
	v_fma_f64 v[108:109], v[163:164], s[14:15], v[136:137]
	v_add_f64_e32 v[20:21], v[24:25], v[20:21]
	v_fma_f64 v[24:25], v[163:164], s[14:15], -v[136:137]
	s_delay_alu instid0(VALU_DEP_3) | instskip(SKIP_1) | instid1(VALU_DEP_3)
	v_add_f64_e32 v[22:23], v[108:109], v[22:23]
	v_fma_f64 v[108:109], v[165:166], s[14:15], -v[167:168]
	v_add_f64_e32 v[10:11], v[24:25], v[10:11]
	v_fma_f64 v[24:25], v[165:166], s[14:15], v[167:168]
	s_delay_alu instid0(VALU_DEP_3) | instskip(SKIP_1) | instid1(VALU_DEP_3)
	v_add_f64_e32 v[106:107], v[108:109], v[106:107]
	v_fma_f64 v[108:109], v[171:172], s[12:13], v[169:170]
	v_add_f64_e32 v[20:21], v[24:25], v[20:21]
	v_fma_f64 v[24:25], v[171:172], s[12:13], -v[169:170]
	s_delay_alu instid0(VALU_DEP_3) | instskip(SKIP_1) | instid1(VALU_DEP_1)
	v_add_f64_e32 v[108:109], v[108:109], v[22:23]
	v_mul_f64_e32 v[22:23], s[26:27], v[88:89]
	v_fma_f64 v[110:111], v[175:176], s[12:13], -v[22:23]
	v_fma_f64 v[22:23], v[175:176], s[12:13], v[22:23]
	s_delay_alu instid0(VALU_DEP_2) | instskip(SKIP_1) | instid1(VALU_DEP_3)
	v_add_f64_e32 v[106:107], v[110:111], v[106:107]
	v_fma_f64 v[110:111], v[153:154], s[0:1], -v[173:174]
	v_add_f64_e32 v[124:125], v[22:23], v[20:21]
	v_fma_f64 v[20:21], v[34:35], s[14:15], -v[191:192]
	v_fma_f64 v[22:23], v[155:156], s[0:1], v[193:194]
	s_delay_alu instid0(VALU_DEP_4) | instskip(SKIP_1) | instid1(VALU_DEP_4)
	v_add_f64_e32 v[30:31], v[110:111], v[30:31]
	v_fma_f64 v[110:111], v[34:35], s[0:1], v[177:178]
	v_add_f64_e32 v[20:21], v[20:21], v[138:139]
	s_delay_alu instid0(VALU_DEP_2) | instskip(SKIP_1) | instid1(VALU_DEP_1)
	v_add_f64_e32 v[110:111], v[110:111], v[112:113]
	v_fma_f64 v[112:113], v[155:156], s[14:15], -v[179:180]
	v_add_f64_e32 v[30:31], v[112:113], v[30:31]
	v_fma_f64 v[112:113], v[157:158], s[14:15], v[181:182]
	s_delay_alu instid0(VALU_DEP_1) | instskip(SKIP_1) | instid1(VALU_DEP_1)
	v_add_f64_e32 v[110:111], v[112:113], v[110:111]
	v_fma_f64 v[112:113], v[159:160], s[8:9], -v[183:184]
	v_add_f64_e32 v[30:31], v[112:113], v[30:31]
	v_fma_f64 v[112:113], v[161:162], s[8:9], v[185:186]
	s_delay_alu instid0(VALU_DEP_1) | instskip(SKIP_1) | instid1(VALU_DEP_1)
	v_add_f64_e32 v[110:111], v[112:113], v[110:111]
	v_fma_f64 v[112:113], v[163:164], s[10:11], -v[187:188]
	v_add_f64_e32 v[30:31], v[112:113], v[30:31]
	v_fma_f64 v[112:113], v[165:166], s[10:11], v[189:190]
	s_delay_alu instid0(VALU_DEP_1) | instskip(SKIP_2) | instid1(VALU_DEP_2)
	v_add_f64_e32 v[110:111], v[112:113], v[110:111]
	v_fma_f64 v[112:113], v[171:172], s[22:23], -v[2:3]
	v_fma_f64 v[2:3], v[171:172], s[22:23], v[2:3]
	v_add_f64_e32 v[112:113], v[112:113], v[30:31]
	v_fma_f64 v[30:31], v[175:176], s[22:23], v[4:5]
	s_delay_alu instid0(VALU_DEP_1) | instskip(SKIP_2) | instid1(VALU_DEP_2)
	v_add_f64_e32 v[110:111], v[30:31], v[110:111]
	v_mul_f64_e32 v[30:31], s[18:19], v[0:1]
	v_mul_f64_e32 v[0:1], s[30:31], v[0:1]
	v_fma_f64 v[120:121], v[153:154], s[14:15], -v[30:31]
	s_delay_alu instid0(VALU_DEP_1) | instskip(SKIP_1) | instid1(VALU_DEP_2)
	v_add_f64_e32 v[28:29], v[120:121], v[28:29]
	v_fma_f64 v[120:121], v[34:35], s[14:15], v[191:192]
	v_add_f64_e32 v[28:29], v[122:123], v[28:29]
	s_delay_alu instid0(VALU_DEP_2) | instskip(SKIP_1) | instid1(VALU_DEP_1)
	v_add_f64_e32 v[120:121], v[120:121], v[126:127]
	v_fma_f64 v[122:123], v[157:158], s[0:1], v[195:196]
	v_add_f64_e32 v[120:121], v[122:123], v[120:121]
	v_fma_f64 v[122:123], v[159:160], s[22:23], -v[6:7]
	v_fma_f64 v[6:7], v[159:160], s[22:23], v[6:7]
	s_delay_alu instid0(VALU_DEP_2) | instskip(SKIP_2) | instid1(VALU_DEP_2)
	v_add_f64_e32 v[28:29], v[122:123], v[28:29]
	v_fma_f64 v[122:123], v[161:162], s[22:23], v[8:9]
	v_fma_f64 v[8:9], v[161:162], s[22:23], -v[8:9]
	v_add_f64_e32 v[120:121], v[122:123], v[120:121]
	v_fma_f64 v[122:123], v[163:164], s[12:13], -v[197:198]
	s_delay_alu instid0(VALU_DEP_1) | instskip(SKIP_1) | instid1(VALU_DEP_1)
	v_add_f64_e32 v[28:29], v[122:123], v[28:29]
	v_fma_f64 v[122:123], v[165:166], s[12:13], v[199:200]
	v_add_f64_e32 v[120:121], v[122:123], v[120:121]
	v_fma_f64 v[122:123], v[171:172], s[8:9], -v[201:202]
	s_delay_alu instid0(VALU_DEP_1) | instskip(SKIP_2) | instid1(VALU_DEP_2)
	v_add_f64_e32 v[122:123], v[122:123], v[28:29]
	v_mul_f64_e32 v[28:29], s[16:17], v[88:89]
	v_mul_f64_e32 v[88:89], s[18:19], v[88:89]
	v_fma_f64 v[126:127], v[175:176], s[8:9], v[28:29]
	s_delay_alu instid0(VALU_DEP_1) | instskip(SKIP_3) | instid1(VALU_DEP_2)
	v_add_f64_e32 v[120:121], v[126:127], v[120:121]
	v_add_f64_e32 v[126:127], v[24:25], v[10:11]
	v_fma_f64 v[10:11], v[153:154], s[14:15], v[30:31]
	v_mul_f64_e32 v[24:25], s[28:29], v[96:97]
	v_add_f64_e32 v[10:11], v[10:11], v[149:150]
	s_delay_alu instid0(VALU_DEP_2) | instskip(NEXT) | instid1(VALU_DEP_2)
	v_fma_f64 v[26:27], v[155:156], s[10:11], -v[24:25]
	v_add_f64_e32 v[10:11], v[22:23], v[10:11]
	v_fma_f64 v[22:23], v[157:158], s[0:1], -v[195:196]
	s_delay_alu instid0(VALU_DEP_2) | instskip(NEXT) | instid1(VALU_DEP_2)
	v_add_f64_e32 v[6:7], v[6:7], v[10:11]
	v_add_f64_e32 v[20:21], v[22:23], v[20:21]
	v_fma_f64 v[10:11], v[163:164], s[12:13], v[197:198]
	v_fma_f64 v[22:23], v[155:156], s[14:15], v[179:180]
	s_delay_alu instid0(VALU_DEP_3) | instskip(NEXT) | instid1(VALU_DEP_3)
	v_add_f64_e32 v[8:9], v[8:9], v[20:21]
	v_add_f64_e32 v[6:7], v[10:11], v[6:7]
	v_fma_f64 v[10:11], v[165:166], s[12:13], -v[199:200]
	v_fma_f64 v[20:21], v[175:176], s[8:9], -v[28:29]
	s_delay_alu instid0(VALU_DEP_2) | instskip(SKIP_1) | instid1(VALU_DEP_1)
	v_add_f64_e32 v[10:11], v[10:11], v[8:9]
	v_fma_f64 v[8:9], v[171:172], s[8:9], v[201:202]
	v_add_f64_e32 v[8:9], v[8:9], v[6:7]
	s_delay_alu instid0(VALU_DEP_3) | instskip(SKIP_2) | instid1(VALU_DEP_2)
	v_add_f64_e32 v[6:7], v[20:21], v[10:11]
	v_fma_f64 v[10:11], v[153:154], s[0:1], v[173:174]
	v_fma_f64 v[20:21], v[34:35], s[0:1], -v[177:178]
	v_add_f64_e32 v[10:11], v[10:11], v[151:152]
	s_delay_alu instid0(VALU_DEP_2) | instskip(NEXT) | instid1(VALU_DEP_2)
	v_add_f64_e32 v[20:21], v[20:21], v[143:144]
	v_add_f64_e32 v[10:11], v[22:23], v[10:11]
	v_fma_f64 v[22:23], v[157:158], s[14:15], -v[181:182]
	s_delay_alu instid0(VALU_DEP_1) | instskip(SKIP_1) | instid1(VALU_DEP_1)
	v_add_f64_e32 v[20:21], v[22:23], v[20:21]
	v_fma_f64 v[22:23], v[159:160], s[8:9], v[183:184]
	v_add_f64_e32 v[10:11], v[22:23], v[10:11]
	v_fma_f64 v[22:23], v[161:162], s[8:9], -v[185:186]
	s_delay_alu instid0(VALU_DEP_1) | instskip(SKIP_1) | instid1(VALU_DEP_1)
	v_add_f64_e32 v[20:21], v[22:23], v[20:21]
	v_fma_f64 v[22:23], v[163:164], s[10:11], v[187:188]
	v_add_f64_e32 v[10:11], v[22:23], v[10:11]
	v_fma_f64 v[22:23], v[165:166], s[10:11], -v[189:190]
	s_delay_alu instid0(VALU_DEP_1) | instskip(SKIP_1) | instid1(VALU_DEP_4)
	v_add_f64_e32 v[20:21], v[22:23], v[20:21]
	v_fma_f64 v[22:23], v[175:176], s[22:23], -v[4:5]
	v_add_f64_e32 v[4:5], v[2:3], v[10:11]
	v_fma_f64 v[10:11], v[153:154], s[12:13], -v[0:1]
	v_fma_f64 v[0:1], v[153:154], s[12:13], v[0:1]
	s_delay_alu instid0(VALU_DEP_4) | instskip(SKIP_1) | instid1(VALU_DEP_4)
	v_add_f64_e32 v[2:3], v[22:23], v[20:21]
	v_mul_f64_e32 v[20:21], s[30:31], v[98:99]
	v_add_f64_e32 v[10:11], v[10:11], v[128:129]
	s_delay_alu instid0(VALU_DEP_4) | instskip(NEXT) | instid1(VALU_DEP_3)
	v_add_f64_e32 v[0:1], v[0:1], v[114:115]
	v_fma_f64 v[22:23], v[34:35], s[12:13], v[20:21]
	s_delay_alu instid0(VALU_DEP_3) | instskip(SKIP_1) | instid1(VALU_DEP_3)
	v_add_f64_e32 v[10:11], v[26:27], v[10:11]
	v_mul_f64_e32 v[26:27], s[28:29], v[94:95]
	v_add_f64_e32 v[22:23], v[22:23], v[145:146]
	s_delay_alu instid0(VALU_DEP_2) | instskip(NEXT) | instid1(VALU_DEP_1)
	v_fma_f64 v[28:29], v[157:158], s[10:11], v[26:27]
	v_add_f64_e32 v[22:23], v[28:29], v[22:23]
	v_mul_f64_e32 v[28:29], s[20:21], v[92:93]
	v_mul_f64_e32 v[92:93], s[18:19], v[82:83]
	s_delay_alu instid0(VALU_DEP_2) | instskip(NEXT) | instid1(VALU_DEP_1)
	v_fma_f64 v[30:31], v[159:160], s[0:1], -v[28:29]
	v_add_f64_e32 v[10:11], v[30:31], v[10:11]
	v_mul_f64_e32 v[30:31], s[20:21], v[90:91]
	s_delay_alu instid0(VALU_DEP_1) | instskip(NEXT) | instid1(VALU_DEP_1)
	v_fma_f64 v[90:91], v[161:162], s[0:1], v[30:31]
	v_add_f64_e32 v[22:23], v[90:91], v[22:23]
	v_fma_f64 v[90:91], v[163:164], s[8:9], -v[86:87]
	s_delay_alu instid0(VALU_DEP_1) | instskip(SKIP_1) | instid1(VALU_DEP_1)
	v_add_f64_e32 v[10:11], v[90:91], v[10:11]
	v_mul_f64_e32 v[90:91], s[16:17], v[80:81]
	v_fma_f64 v[80:81], v[165:166], s[8:9], v[90:91]
	s_delay_alu instid0(VALU_DEP_1) | instskip(SKIP_1) | instid1(VALU_DEP_1)
	v_add_f64_e32 v[22:23], v[80:81], v[22:23]
	v_fma_f64 v[80:81], v[171:172], s[14:15], -v[92:93]
	v_add_f64_e32 v[82:83], v[80:81], v[10:11]
	v_fma_f64 v[10:11], v[175:176], s[14:15], v[88:89]
	s_delay_alu instid0(VALU_DEP_1) | instskip(SKIP_2) | instid1(VALU_DEP_2)
	v_add_f64_e32 v[80:81], v[10:11], v[22:23]
	v_add_f64_e32 v[10:11], v[130:131], v[84:85]
	;; [unrolled: 1-line block ×4, first 2 shown]
	s_delay_alu instid0(VALU_DEP_2) | instskip(NEXT) | instid1(VALU_DEP_2)
	v_add_f64_e32 v[22:23], v[22:23], v[68:69]
	v_add_f64_e32 v[10:11], v[10:11], v[64:65]
	s_delay_alu instid0(VALU_DEP_2) | instskip(NEXT) | instid1(VALU_DEP_2)
	v_add_f64_e32 v[22:23], v[22:23], v[62:63]
	v_add_f64_e32 v[10:11], v[10:11], v[60:61]
	;; [unrolled: 3-line block ×9, first 2 shown]
	v_fma_f64 v[10:11], v[34:35], s[12:13], -v[20:21]
	s_delay_alu instid0(VALU_DEP_3)
	v_add_f64_e32 v[46:47], v[22:23], v[46:47]
	v_fma_f64 v[20:21], v[155:156], s[10:11], v[24:25]
	v_fma_f64 v[22:23], v[157:158], s[10:11], -v[26:27]
	v_fma_f64 v[24:25], v[159:160], s[0:1], v[28:29]
	v_fma_f64 v[26:27], v[161:162], s[0:1], -v[30:31]
	v_add_f64_e32 v[10:11], v[10:11], v[32:33]
	v_add_f64_e32 v[0:1], v[20:21], v[0:1]
	v_fma_f64 v[20:21], v[163:164], s[8:9], v[86:87]
	s_delay_alu instid0(VALU_DEP_3) | instskip(SKIP_1) | instid1(VALU_DEP_4)
	v_add_f64_e32 v[10:11], v[22:23], v[10:11]
	v_fma_f64 v[22:23], v[165:166], s[8:9], -v[90:91]
	v_add_f64_e32 v[0:1], v[24:25], v[0:1]
	v_fma_f64 v[24:25], v[171:172], s[14:15], v[92:93]
	s_delay_alu instid0(VALU_DEP_4) | instskip(SKIP_1) | instid1(VALU_DEP_4)
	v_add_f64_e32 v[10:11], v[26:27], v[10:11]
	v_fma_f64 v[26:27], v[175:176], s[14:15], -v[88:89]
	v_add_f64_e32 v[0:1], v[20:21], v[0:1]
	s_delay_alu instid0(VALU_DEP_3) | instskip(NEXT) | instid1(VALU_DEP_2)
	v_add_f64_e32 v[10:11], v[22:23], v[10:11]
	v_add_f64_e32 v[52:53], v[24:25], v[0:1]
	s_delay_alu instid0(VALU_DEP_2)
	v_add_f64_e32 v[50:51], v[26:27], v[10:11]
	ds_store_b128 v255, v[110:113] offset:3200
	ds_store_b128 v255, v[120:123] offset:4800
	;; [unrolled: 1-line block ×11, first 2 shown]
	ds_store_b128 v255, v[46:49]
	ds_store_b128 v255, v[50:53] offset:19200
.LBB0_9:
	s_or_b32 exec_lo, exec_lo, s33
	global_wb scope:SCOPE_SE
	s_wait_dscnt 0x0
	s_barrier_signal -1
	s_barrier_wait -1
	global_inv scope:SCOPE_SE
	ds_load_b128 v[0:3], v255
	ds_load_b128 v[4:7], v255 offset:2080
	ds_load_b128 v[8:11], v255 offset:4160
	;; [unrolled: 1-line block ×3, first 2 shown]
	scratch_load_b64 v[16:17], off, off offset:4 th:TH_LOAD_LU ; 8-byte Folded Reload
	s_mul_u64 s[0:1], s[4:5], 0x820
	s_wait_loadcnt 0x0
	v_mov_b32_e32 v64, v16
	ds_load_b128 v[16:19], v255 offset:8320
	ds_load_b128 v[40:43], v255 offset:10400
	scratch_load_b32 v87, off, off th:TH_LOAD_LU ; 4-byte Folded Reload
	ds_load_b128 v[44:47], v255 offset:12480
	ds_load_b128 v[48:51], v255 offset:14560
	;; [unrolled: 1-line block ×4, first 2 shown]
	s_clause 0x1
	scratch_load_b128 v[89:92], off, off offset:12 th:TH_LOAD_LU
	scratch_load_b128 v[36:39], off, off offset:156 th:TH_LOAD_LU
	s_wait_loadcnt 0x2
	v_mad_co_u64_u32 v[22:23], null, s4, v87, 0
	s_wait_loadcnt_dscnt 0x109
	v_mul_f64_e32 v[24:25], v[91:92], v[2:3]
	v_mul_f64_e32 v[26:27], v[91:92], v[0:1]
	scratch_load_b128 v[91:94], off, off offset:28 th:TH_LOAD_LU ; 16-byte Folded Reload
	s_wait_loadcnt_dscnt 0x100
	v_mul_f64_e32 v[85:86], v[38:39], v[58:59]
	v_mul_f64_e32 v[38:39], v[38:39], v[56:57]
	v_mad_co_u64_u32 v[87:88], null, s5, v87, v[23:24]
	v_fma_f64 v[0:1], v[89:90], v[0:1], v[24:25]
	v_fma_f64 v[2:3], v[89:90], v[2:3], -v[26:27]
	s_delay_alu instid0(VALU_DEP_4) | instskip(NEXT) | instid1(VALU_DEP_4)
	v_fma_f64 v[38:39], v[36:37], v[58:59], -v[38:39]
	v_mov_b32_e32 v23, v87
	v_mad_co_u64_u32 v[20:21], null, s6, v64, 0
	s_delay_alu instid0(VALU_DEP_1) | instskip(NEXT) | instid1(VALU_DEP_3)
	v_mad_co_u64_u32 v[64:65], null, s7, v64, v[21:22]
	v_lshlrev_b64_e32 v[22:23], 4, v[22:23]
	s_delay_alu instid0(VALU_DEP_2) | instskip(NEXT) | instid1(VALU_DEP_1)
	v_mov_b32_e32 v21, v64
	v_lshlrev_b64_e32 v[20:21], 4, v[20:21]
	s_wait_loadcnt 0x0
	v_mul_f64_e32 v[28:29], v[93:94], v[6:7]
	v_mul_f64_e32 v[30:31], v[93:94], v[4:5]
	scratch_load_b128 v[93:96], off, off offset:44 th:TH_LOAD_LU ; 16-byte Folded Reload
	v_fma_f64 v[4:5], v[91:92], v[4:5], v[28:29]
	v_fma_f64 v[6:7], v[91:92], v[6:7], -v[30:31]
	s_wait_loadcnt 0x0
	v_mul_f64_e32 v[32:33], v[95:96], v[10:11]
	v_mul_f64_e32 v[34:35], v[95:96], v[8:9]
	scratch_load_b128 v[95:98], off, off offset:60 th:TH_LOAD_LU ; 16-byte Folded Reload
	v_fma_f64 v[8:9], v[93:94], v[8:9], v[32:33]
	v_fma_f64 v[10:11], v[93:94], v[10:11], -v[34:35]
	s_wait_loadcnt 0x0
	v_mul_f64_e32 v[60:61], v[97:98], v[14:15]
	v_mul_f64_e32 v[62:63], v[97:98], v[12:13]
	scratch_load_b128 v[97:100], off, off offset:76 th:TH_LOAD_LU ; 16-byte Folded Reload
	v_fma_f64 v[12:13], v[95:96], v[12:13], v[60:61]
	v_add_co_u32 v60, vcc_lo, s2, v20
	v_fma_f64 v[14:15], v[95:96], v[14:15], -v[62:63]
	s_wait_alu 0xfffd
	v_add_co_ci_u32_e32 v61, vcc_lo, s3, v21, vcc_lo
	s_mov_b32 s2, 0x7f9b2ce6
	s_mov_b32 s3, 0x3f4934c6
	s_wait_alu 0xfffe
	v_mul_f64_e32 v[0:1], s[2:3], v[0:1]
	v_mul_f64_e32 v[2:3], s[2:3], v[2:3]
	;; [unrolled: 1-line block ×9, first 2 shown]
	s_wait_loadcnt 0x0
	v_mul_f64_e32 v[65:66], v[99:100], v[18:19]
	v_mul_f64_e32 v[67:68], v[99:100], v[16:17]
	scratch_load_b128 v[99:102], off, off offset:92 th:TH_LOAD_LU ; 16-byte Folded Reload
	v_fma_f64 v[16:17], v[97:98], v[16:17], v[65:66]
	v_fma_f64 v[18:19], v[97:98], v[18:19], -v[67:68]
	s_delay_alu instid0(VALU_DEP_2) | instskip(NEXT) | instid1(VALU_DEP_2)
	v_mul_f64_e32 v[16:17], s[2:3], v[16:17]
	v_mul_f64_e32 v[18:19], s[2:3], v[18:19]
	s_wait_loadcnt 0x0
	v_mul_f64_e32 v[69:70], v[101:102], v[42:43]
	v_mul_f64_e32 v[71:72], v[101:102], v[40:41]
	scratch_load_b128 v[101:104], off, off offset:108 th:TH_LOAD_LU ; 16-byte Folded Reload
	v_fma_f64 v[20:21], v[99:100], v[40:41], v[69:70]
	v_fma_f64 v[24:25], v[99:100], v[42:43], -v[71:72]
	v_fma_f64 v[42:43], v[36:37], v[56:57], v[85:86]
	s_delay_alu instid0(VALU_DEP_3) | instskip(NEXT) | instid1(VALU_DEP_2)
	v_mul_f64_e32 v[20:21], s[2:3], v[20:21]
	v_mul_f64_e32 v[36:37], s[2:3], v[42:43]
	s_wait_loadcnt 0x0
	v_mul_f64_e32 v[73:74], v[103:104], v[46:47]
	v_mul_f64_e32 v[75:76], v[103:104], v[44:45]
	scratch_load_b128 v[103:106], off, off offset:124 th:TH_LOAD_LU ; 16-byte Folded Reload
	v_fma_f64 v[26:27], v[101:102], v[44:45], v[73:74]
	v_fma_f64 v[28:29], v[101:102], v[46:47], -v[75:76]
	v_add_co_u32 v44, vcc_lo, v60, v22
	s_wait_alu 0xfffd
	v_add_co_ci_u32_e32 v45, vcc_lo, v61, v23, vcc_lo
	v_mul_f64_e32 v[22:23], s[2:3], v[24:25]
	s_delay_alu instid0(VALU_DEP_3) | instskip(SKIP_1) | instid1(VALU_DEP_3)
	v_add_co_u32 v46, vcc_lo, v44, s0
	s_wait_alu 0xfffd
	v_add_co_ci_u32_e32 v47, vcc_lo, s1, v45, vcc_lo
	v_mul_f64_e32 v[24:25], s[2:3], v[26:27]
	v_mul_f64_e32 v[26:27], s[2:3], v[28:29]
	s_wait_loadcnt 0x0
	v_mul_f64_e32 v[77:78], v[105:106], v[50:51]
	v_mul_f64_e32 v[79:80], v[105:106], v[48:49]
	scratch_load_b128 v[105:108], off, off offset:140 th:TH_LOAD_LU ; 16-byte Folded Reload
	v_fma_f64 v[30:31], v[103:104], v[48:49], v[77:78]
	v_fma_f64 v[32:33], v[103:104], v[50:51], -v[79:80]
	v_add_co_u32 v48, vcc_lo, v46, s0
	s_wait_alu 0xfffd
	v_add_co_ci_u32_e32 v49, vcc_lo, s1, v47, vcc_lo
	s_delay_alu instid0(VALU_DEP_2) | instskip(SKIP_1) | instid1(VALU_DEP_2)
	v_add_co_u32 v50, vcc_lo, v48, s0
	s_wait_alu 0xfffd
	v_add_co_ci_u32_e32 v51, vcc_lo, s1, v49, vcc_lo
	v_mul_f64_e32 v[28:29], s[2:3], v[30:31]
	v_mul_f64_e32 v[30:31], s[2:3], v[32:33]
	s_wait_loadcnt 0x0
	v_mul_f64_e32 v[81:82], v[107:108], v[54:55]
	v_mul_f64_e32 v[83:84], v[107:108], v[52:53]
	s_delay_alu instid0(VALU_DEP_2) | instskip(NEXT) | instid1(VALU_DEP_2)
	v_fma_f64 v[34:35], v[105:106], v[52:53], v[81:82]
	v_fma_f64 v[40:41], v[105:106], v[54:55], -v[83:84]
	s_delay_alu instid0(VALU_DEP_2) | instskip(NEXT) | instid1(VALU_DEP_2)
	v_mul_f64_e32 v[32:33], s[2:3], v[34:35]
	v_mul_f64_e32 v[34:35], s[2:3], v[40:41]
	v_add_co_u32 v40, vcc_lo, v50, s0
	s_wait_alu 0xfffd
	v_add_co_ci_u32_e32 v41, vcc_lo, s1, v51, vcc_lo
	s_clause 0x4
	global_store_b128 v[44:45], v[0:3], off
	global_store_b128 v[46:47], v[4:7], off
	;; [unrolled: 1-line block ×5, first 2 shown]
	v_add_co_u32 v42, vcc_lo, v40, s0
	s_wait_alu 0xfffd
	v_add_co_ci_u32_e32 v43, vcc_lo, s1, v41, vcc_lo
	s_delay_alu instid0(VALU_DEP_2) | instskip(SKIP_1) | instid1(VALU_DEP_2)
	v_add_co_u32 v52, vcc_lo, v42, s0
	s_wait_alu 0xfffd
	v_add_co_ci_u32_e32 v53, vcc_lo, s1, v43, vcc_lo
	s_delay_alu instid0(VALU_DEP_2) | instskip(SKIP_1) | instid1(VALU_DEP_2)
	;; [unrolled: 4-line block ×4, first 2 shown]
	v_add_co_u32 v0, vcc_lo, v56, s0
	s_wait_alu 0xfffd
	v_add_co_ci_u32_e32 v1, vcc_lo, s1, v57, vcc_lo
	global_store_b128 v[42:43], v[20:23], off
	global_store_b128 v[52:53], v[24:27], off
	global_store_b128 v[54:55], v[28:31], off
	global_store_b128 v[56:57], v[32:35], off
	global_store_b128 v[0:1], v[36:39], off
.LBB0_10:
	s_nop 0
	s_sendmsg sendmsg(MSG_DEALLOC_VGPRS)
	s_endpgm
	.section	.rodata,"a",@progbits
	.p2align	6, 0x0
	.amdhsa_kernel bluestein_single_fwd_len1300_dim1_dp_op_CI_CI
		.amdhsa_group_segment_fixed_size 20800
		.amdhsa_private_segment_fixed_size 400
		.amdhsa_kernarg_size 104
		.amdhsa_user_sgpr_count 2
		.amdhsa_user_sgpr_dispatch_ptr 0
		.amdhsa_user_sgpr_queue_ptr 0
		.amdhsa_user_sgpr_kernarg_segment_ptr 1
		.amdhsa_user_sgpr_dispatch_id 0
		.amdhsa_user_sgpr_private_segment_size 0
		.amdhsa_wavefront_size32 1
		.amdhsa_uses_dynamic_stack 0
		.amdhsa_enable_private_segment 1
		.amdhsa_system_sgpr_workgroup_id_x 1
		.amdhsa_system_sgpr_workgroup_id_y 0
		.amdhsa_system_sgpr_workgroup_id_z 0
		.amdhsa_system_sgpr_workgroup_info 0
		.amdhsa_system_vgpr_workitem_id 0
		.amdhsa_next_free_vgpr 256
		.amdhsa_next_free_sgpr 46
		.amdhsa_reserve_vcc 1
		.amdhsa_float_round_mode_32 0
		.amdhsa_float_round_mode_16_64 0
		.amdhsa_float_denorm_mode_32 3
		.amdhsa_float_denorm_mode_16_64 3
		.amdhsa_fp16_overflow 0
		.amdhsa_workgroup_processor_mode 1
		.amdhsa_memory_ordered 1
		.amdhsa_forward_progress 0
		.amdhsa_round_robin_scheduling 0
		.amdhsa_exception_fp_ieee_invalid_op 0
		.amdhsa_exception_fp_denorm_src 0
		.amdhsa_exception_fp_ieee_div_zero 0
		.amdhsa_exception_fp_ieee_overflow 0
		.amdhsa_exception_fp_ieee_underflow 0
		.amdhsa_exception_fp_ieee_inexact 0
		.amdhsa_exception_int_div_zero 0
	.end_amdhsa_kernel
	.text
.Lfunc_end0:
	.size	bluestein_single_fwd_len1300_dim1_dp_op_CI_CI, .Lfunc_end0-bluestein_single_fwd_len1300_dim1_dp_op_CI_CI
                                        ; -- End function
	.section	.AMDGPU.csdata,"",@progbits
; Kernel info:
; codeLenInByte = 16904
; NumSgprs: 48
; NumVgprs: 256
; ScratchSize: 400
; MemoryBound: 0
; FloatMode: 240
; IeeeMode: 1
; LDSByteSize: 20800 bytes/workgroup (compile time only)
; SGPRBlocks: 5
; VGPRBlocks: 31
; NumSGPRsForWavesPerEU: 48
; NumVGPRsForWavesPerEU: 256
; Occupancy: 5
; WaveLimiterHint : 1
; COMPUTE_PGM_RSRC2:SCRATCH_EN: 1
; COMPUTE_PGM_RSRC2:USER_SGPR: 2
; COMPUTE_PGM_RSRC2:TRAP_HANDLER: 0
; COMPUTE_PGM_RSRC2:TGID_X_EN: 1
; COMPUTE_PGM_RSRC2:TGID_Y_EN: 0
; COMPUTE_PGM_RSRC2:TGID_Z_EN: 0
; COMPUTE_PGM_RSRC2:TIDIG_COMP_CNT: 0
	.text
	.p2alignl 7, 3214868480
	.fill 96, 4, 3214868480
	.type	__hip_cuid_d9f2badb60e655b9,@object ; @__hip_cuid_d9f2badb60e655b9
	.section	.bss,"aw",@nobits
	.globl	__hip_cuid_d9f2badb60e655b9
__hip_cuid_d9f2badb60e655b9:
	.byte	0                               ; 0x0
	.size	__hip_cuid_d9f2badb60e655b9, 1

	.ident	"AMD clang version 19.0.0git (https://github.com/RadeonOpenCompute/llvm-project roc-6.4.0 25133 c7fe45cf4b819c5991fe208aaa96edf142730f1d)"
	.section	".note.GNU-stack","",@progbits
	.addrsig
	.addrsig_sym __hip_cuid_d9f2badb60e655b9
	.amdgpu_metadata
---
amdhsa.kernels:
  - .args:
      - .actual_access:  read_only
        .address_space:  global
        .offset:         0
        .size:           8
        .value_kind:     global_buffer
      - .actual_access:  read_only
        .address_space:  global
        .offset:         8
        .size:           8
        .value_kind:     global_buffer
      - .actual_access:  read_only
        .address_space:  global
        .offset:         16
        .size:           8
        .value_kind:     global_buffer
      - .actual_access:  read_only
        .address_space:  global
        .offset:         24
        .size:           8
        .value_kind:     global_buffer
      - .actual_access:  read_only
        .address_space:  global
        .offset:         32
        .size:           8
        .value_kind:     global_buffer
      - .offset:         40
        .size:           8
        .value_kind:     by_value
      - .address_space:  global
        .offset:         48
        .size:           8
        .value_kind:     global_buffer
      - .address_space:  global
        .offset:         56
        .size:           8
        .value_kind:     global_buffer
      - .address_space:  global
        .offset:         64
        .size:           8
        .value_kind:     global_buffer
      - .address_space:  global
        .offset:         72
        .size:           8
        .value_kind:     global_buffer
      - .offset:         80
        .size:           4
        .value_kind:     by_value
      - .address_space:  global
        .offset:         88
        .size:           8
        .value_kind:     global_buffer
      - .address_space:  global
        .offset:         96
        .size:           8
        .value_kind:     global_buffer
    .group_segment_fixed_size: 20800
    .kernarg_segment_align: 8
    .kernarg_segment_size: 104
    .language:       OpenCL C
    .language_version:
      - 2
      - 0
    .max_flat_workgroup_size: 130
    .name:           bluestein_single_fwd_len1300_dim1_dp_op_CI_CI
    .private_segment_fixed_size: 400
    .sgpr_count:     48
    .sgpr_spill_count: 0
    .symbol:         bluestein_single_fwd_len1300_dim1_dp_op_CI_CI.kd
    .uniform_work_group_size: 1
    .uses_dynamic_stack: false
    .vgpr_count:     256
    .vgpr_spill_count: 99
    .wavefront_size: 32
    .workgroup_processor_mode: 1
amdhsa.target:   amdgcn-amd-amdhsa--gfx1201
amdhsa.version:
  - 1
  - 2
...

	.end_amdgpu_metadata
